;; amdgpu-corpus repo=ROCm/rocFFT kind=compiled arch=gfx1201 opt=O3
	.text
	.amdgcn_target "amdgcn-amd-amdhsa--gfx1201"
	.amdhsa_code_object_version 6
	.protected	bluestein_single_fwd_len640_dim1_sp_op_CI_CI ; -- Begin function bluestein_single_fwd_len640_dim1_sp_op_CI_CI
	.globl	bluestein_single_fwd_len640_dim1_sp_op_CI_CI
	.p2align	8
	.type	bluestein_single_fwd_len640_dim1_sp_op_CI_CI,@function
bluestein_single_fwd_len640_dim1_sp_op_CI_CI: ; @bluestein_single_fwd_len640_dim1_sp_op_CI_CI
; %bb.0:
	s_load_b128 s[12:15], s[0:1], 0x28
	v_lshrrev_b32_e32 v1, 6, v0
	v_mov_b32_e32 v90, 0
	s_mov_b32 s2, exec_lo
	s_delay_alu instid0(VALU_DEP_2) | instskip(NEXT) | instid1(VALU_DEP_2)
	v_lshl_or_b32 v70, ttmp9, 1, v1
	v_mov_b32_e32 v71, v90
	s_wait_kmcnt 0x0
	s_delay_alu instid0(VALU_DEP_1)
	v_cmpx_gt_u64_e64 s[12:13], v[70:71]
	s_cbranch_execz .LBB0_23
; %bb.1:
	s_clause 0x1
	s_load_b128 s[4:7], s[0:1], 0x18
	s_load_b64 s[12:13], s[0:1], 0x0
	v_and_b32_e32 v98, 63, v0
	s_delay_alu instid0(VALU_DEP_1)
	v_lshlrev_b32_e32 v101, 3, v98
	s_wait_kmcnt 0x0
	s_load_b128 s[8:11], s[4:5], 0x0
	s_clause 0x5
	global_load_b64 v[71:72], v101, s[12:13]
	global_load_b64 v[73:74], v101, s[12:13] offset:640
	global_load_b64 v[75:76], v101, s[12:13] offset:1280
	;; [unrolled: 1-line block ×5, first 2 shown]
	s_wait_kmcnt 0x0
	v_mad_co_u64_u32 v[1:2], null, s10, v70, 0
	v_mad_co_u64_u32 v[3:4], null, s8, v98, 0
	s_mul_u64 s[2:3], s[8:9], 0x50
	s_delay_alu instid0(VALU_DEP_1) | instskip(SKIP_1) | instid1(VALU_DEP_1)
	v_mad_co_u64_u32 v[5:6], null, s11, v70, v[2:3]
	s_load_b64 s[10:11], s[0:1], 0x38
	v_mad_co_u64_u32 v[6:7], null, s9, v98, v[4:5]
	v_mov_b32_e32 v2, v5
	s_delay_alu instid0(VALU_DEP_1) | instskip(NEXT) | instid1(VALU_DEP_3)
	v_lshlrev_b64_e32 v[1:2], 3, v[1:2]
	v_mov_b32_e32 v4, v6
	s_delay_alu instid0(VALU_DEP_2) | instskip(NEXT) | instid1(VALU_DEP_2)
	v_add_co_u32 v1, vcc_lo, s14, v1
	v_lshlrev_b64_e32 v[3:4], 3, v[3:4]
	s_delay_alu instid0(VALU_DEP_4) | instskip(SKIP_2) | instid1(VALU_DEP_3)
	v_add_co_ci_u32_e32 v2, vcc_lo, s15, v2, vcc_lo
	s_lshl_b64 s[14:15], s[2:3], 3
	v_add_co_u32 v68, s2, s12, v101
	v_add_co_u32 v1, vcc_lo, v1, v3
	s_wait_alu 0xfffd
	v_add_co_ci_u32_e32 v2, vcc_lo, v2, v4, vcc_lo
	v_add_co_ci_u32_e64 v69, null, s13, 0, s2
	s_wait_alu 0xfffe
	v_add_co_u32 v3, vcc_lo, v1, s14
	s_wait_alu 0xfffd
	v_add_co_ci_u32_e32 v4, vcc_lo, s15, v2, vcc_lo
	global_load_b64 v[7:8], v[1:2], off
	v_add_co_u32 v5, vcc_lo, v3, s14
	global_load_b64 v[9:10], v[3:4], off
	s_wait_alu 0xfffd
	v_add_co_ci_u32_e32 v6, vcc_lo, s15, v4, vcc_lo
	v_add_co_u32 v1, vcc_lo, v5, s14
	v_and_b32_e32 v0, 64, v0
	s_wait_alu 0xfffd
	s_delay_alu instid0(VALU_DEP_3) | instskip(NEXT) | instid1(VALU_DEP_3)
	v_add_co_ci_u32_e32 v2, vcc_lo, s15, v6, vcc_lo
	v_add_co_u32 v3, vcc_lo, v1, s14
	global_load_b64 v[5:6], v[5:6], off
	s_wait_alu 0xfffd
	v_add_co_ci_u32_e32 v4, vcc_lo, s15, v2, vcc_lo
	v_add_co_u32 v11, vcc_lo, v3, s14
	s_clause 0x1
	global_load_b64 v[13:14], v[1:2], off
	global_load_b64 v[15:16], v[3:4], off
	s_wait_alu 0xfffd
	v_add_co_ci_u32_e32 v12, vcc_lo, s15, v4, vcc_lo
	v_add_co_u32 v3, vcc_lo, v11, s14
	s_wait_alu 0xfffd
	s_delay_alu instid0(VALU_DEP_2)
	v_add_co_ci_u32_e32 v4, vcc_lo, s15, v12, vcc_lo
	global_load_b64 v[11:12], v[11:12], off
	v_add_co_u32 v1, vcc_lo, v3, s14
	s_wait_alu 0xfffd
	v_add_co_ci_u32_e32 v2, vcc_lo, s15, v4, vcc_lo
	global_load_b64 v[17:18], v[3:4], off
	s_clause 0x1
	global_load_b64 v[83:84], v101, s[12:13] offset:3840
	global_load_b64 v[85:86], v101, s[12:13] offset:4480
	global_load_b64 v[19:20], v[1:2], off
	s_load_b128 s[4:7], s[6:7], 0x0
	s_wait_loadcnt 0x9
	v_mul_f32_e32 v21, v8, v72
	s_wait_loadcnt 0x8
	v_dual_mul_f32 v22, v7, v72 :: v_dual_mul_f32 v23, v9, v74
	s_delay_alu instid0(VALU_DEP_2) | instskip(SKIP_3) | instid1(VALU_DEP_3)
	v_fmac_f32_e32 v21, v7, v71
	v_mul_f32_e32 v7, v10, v74
	v_cmp_ne_u32_e32 vcc_lo, 0, v0
	v_or_b32_e32 v89, 64, v98
	v_fmac_f32_e32 v7, v9, v73
	s_wait_alu 0xfffd
	v_cndmask_b32_e64 v100, 0, 0x280, vcc_lo
	s_wait_loadcnt 0x7
	v_mul_f32_e32 v4, v6, v76
	v_mul_f32_e32 v24, v5, v76
	v_fma_f32 v22, v8, v71, -v22
	v_cmp_gt_u64_e32 vcc_lo, 0x50, v[89:90]
	s_wait_loadcnt 0x6
	v_mul_f32_e32 v9, v14, v78
	v_or_b32_e32 v0, v100, v98
	v_lshl_or_b32 v97, v100, 3, v101
	v_fma_f32 v8, v10, v73, -v23
	v_fmac_f32_e32 v4, v5, v75
	v_fma_f32 v5, v6, v75, -v24
	v_lshlrev_b32_e32 v99, 3, v0
	v_add_nc_u32_e32 v3, 0x400, v97
	v_add_nc_u32_e32 v0, 0x800, v97
	v_mul_f32_e32 v6, v13, v78
	s_wait_loadcnt 0x5
	v_mul_f32_e32 v23, v16, v82
	v_dual_mul_f32 v24, v15, v82 :: v_dual_fmac_f32 v9, v13, v77
	s_wait_loadcnt 0x4
	v_mul_f32_e32 v13, v12, v80
	v_fma_f32 v10, v14, v77, -v6
	v_mul_f32_e32 v6, v11, v80
	v_fmac_f32_e32 v23, v15, v81
	v_fma_f32 v24, v16, v81, -v24
	s_wait_loadcnt 0x2
	v_dual_mul_f32 v16, v17, v84 :: v_dual_fmac_f32 v13, v11, v79
	v_mul_f32_e32 v11, v18, v84
	s_wait_loadcnt 0x0
	v_mul_f32_e32 v15, v20, v86
	v_mul_f32_e32 v25, v19, v86
	v_fma_f32 v14, v12, v79, -v6
	v_fma_f32 v12, v18, v83, -v16
	v_fmac_f32_e32 v11, v17, v83
	v_fmac_f32_e32 v15, v19, v85
	v_fma_f32 v16, v20, v85, -v25
	ds_store_b64 v99, v[21:22]
	ds_store_2addr_b64 v97, v[7:8], v[4:5] offset0:80 offset1:160
	ds_store_2addr_b64 v3, v[9:10], v[23:24] offset0:112 offset1:192
	;; [unrolled: 1-line block ×3, first 2 shown]
	ds_store_b64 v97, v[15:16] offset:4480
	s_and_saveexec_b32 s3, vcc_lo
	s_cbranch_execz .LBB0_3
; %bb.2:
	v_mad_co_u64_u32 v[1:2], null, 0xfffff080, s8, v[1:2]
	s_mul_i32 s2, s9, 0xfffff080
	s_clause 0x2
	global_load_b64 v[6:7], v[68:69], off offset:512
	global_load_b64 v[8:9], v[68:69], off offset:1152
	;; [unrolled: 1-line block ×3, first 2 shown]
	s_wait_alu 0xfffe
	s_sub_co_i32 s2, s2, s8
	s_wait_alu 0xfffe
	v_add_nc_u32_e32 v2, s2, v2
	v_add_co_u32 v4, s2, v1, s14
	s_wait_alu 0xf1ff
	s_delay_alu instid0(VALU_DEP_2) | instskip(NEXT) | instid1(VALU_DEP_2)
	v_add_co_ci_u32_e64 v5, s2, s15, v2, s2
	v_add_co_u32 v12, s2, v4, s14
	global_load_b64 v[1:2], v[1:2], off
	s_wait_alu 0xf1ff
	v_add_co_ci_u32_e64 v13, s2, s15, v5, s2
	v_add_co_u32 v14, s2, v12, s14
	global_load_b64 v[4:5], v[4:5], off
	s_wait_alu 0xf1ff
	;; [unrolled: 4-line block ×3, first 2 shown]
	v_add_co_ci_u32_e64 v17, s2, s15, v15, s2
	v_add_co_u32 v18, s2, v16, s14
	s_wait_alu 0xf1ff
	s_delay_alu instid0(VALU_DEP_2)
	v_add_co_ci_u32_e64 v19, s2, s15, v17, s2
	s_clause 0x1
	global_load_b64 v[20:21], v[68:69], off offset:2432
	global_load_b64 v[22:23], v[68:69], off offset:3072
	global_load_b64 v[14:15], v[14:15], off
	global_load_b64 v[16:17], v[16:17], off
	;; [unrolled: 1-line block ×3, first 2 shown]
	v_add_co_u32 v18, s2, v18, s14
	s_wait_alu 0xf1ff
	v_add_co_ci_u32_e64 v19, s2, s15, v19, s2
	global_load_b64 v[26:27], v[68:69], off offset:3712
	v_add_co_u32 v28, s2, v18, s14
	s_wait_alu 0xf1ff
	v_add_co_ci_u32_e64 v29, s2, s15, v19, s2
	global_load_b64 v[18:19], v[18:19], off
	s_clause 0x1
	global_load_b64 v[30:31], v[68:69], off offset:4352
	global_load_b64 v[32:33], v[68:69], off offset:4992
	global_load_b64 v[28:29], v[28:29], off
	s_wait_loadcnt 0xc
	v_mul_f32_e32 v35, v1, v7
	v_mul_f32_e32 v34, v2, v7
	s_delay_alu instid0(VALU_DEP_2) | instskip(NEXT) | instid1(VALU_DEP_2)
	v_fma_f32 v35, v2, v6, -v35
	v_fmac_f32_e32 v34, v1, v6
	s_wait_loadcnt 0xb
	v_mul_f32_e32 v1, v5, v9
	v_mul_f32_e32 v9, v4, v9
	s_wait_loadcnt 0xa
	v_mul_f32_e32 v6, v12, v11
	v_mul_f32_e32 v7, v13, v11
	v_fmac_f32_e32 v1, v4, v8
	v_fma_f32 v2, v5, v8, -v9
	s_wait_loadcnt 0x7
	v_mul_f32_e32 v5, v14, v21
	v_fma_f32 v8, v13, v10, -v6
	s_wait_loadcnt 0x6
	v_mul_f32_e32 v6, v16, v23
	v_dual_mul_f32 v4, v15, v21 :: v_dual_mul_f32 v9, v17, v23
	v_fmac_f32_e32 v7, v12, v10
	v_fma_f32 v5, v15, v20, -v5
	s_wait_loadcnt 0x4
	s_delay_alu instid0(VALU_DEP_3)
	v_dual_mul_f32 v11, v25, v27 :: v_dual_fmac_f32 v4, v14, v20
	v_fmac_f32_e32 v9, v16, v22
	s_wait_loadcnt 0x2
	v_mul_f32_e32 v13, v19, v31
	s_wait_loadcnt 0x0
	v_dual_mul_f32 v14, v18, v31 :: v_dual_mul_f32 v15, v29, v33
	v_fma_f32 v10, v17, v22, -v6
	s_delay_alu instid0(VALU_DEP_3) | instskip(SKIP_1) | instid1(VALU_DEP_4)
	v_dual_mul_f32 v6, v24, v27 :: v_dual_fmac_f32 v13, v18, v30
	v_mul_f32_e32 v16, v28, v33
	v_fma_f32 v14, v19, v30, -v14
	v_fmac_f32_e32 v15, v28, v32
	s_delay_alu instid0(VALU_DEP_4)
	v_fma_f32 v12, v25, v26, -v6
	v_dual_fmac_f32 v11, v24, v26 :: v_dual_add_nc_u32 v6, 0x1000, v97
	v_fma_f32 v16, v29, v32, -v16
	ds_store_2addr_b64 v97, v[34:35], v[1:2] offset0:64 offset1:144
	ds_store_2addr_b64 v3, v[7:8], v[4:5] offset0:96 offset1:176
	ds_store_2addr_b64 v0, v[9:10], v[11:12] offset0:128 offset1:208
	ds_store_2addr_b64 v6, v[13:14], v[15:16] offset0:32 offset1:112
.LBB0_3:
	s_wait_alu 0xfffe
	s_or_b32 exec_lo, exec_lo, s3
	global_wb scope:SCOPE_SE
	s_wait_dscnt 0x0
	s_wait_kmcnt 0x0
	s_barrier_signal -1
	s_barrier_wait -1
	global_inv scope:SCOPE_SE
	ds_load_2addr_b64 v[20:23], v97 offset0:80 offset1:160
	ds_load_2addr_b64 v[16:19], v3 offset0:112 offset1:192
	;; [unrolled: 1-line block ×3, first 2 shown]
	ds_load_b64 v[30:31], v99
	ds_load_b64 v[28:29], v97 offset:4480
                                        ; implicit-def: $vgpr6
                                        ; implicit-def: $vgpr14
                                        ; implicit-def: $vgpr2
                                        ; implicit-def: $vgpr10
	s_and_saveexec_b32 s2, vcc_lo
	s_cbranch_execz .LBB0_5
; %bb.4:
	v_add_nc_u32_e32 v0, 0x400, v97
	v_add_nc_u32_e32 v4, 0x800, v97
	;; [unrolled: 1-line block ×3, first 2 shown]
	ds_load_2addr_b64 v[8:11], v97 offset0:64 offset1:144
	ds_load_2addr_b64 v[0:3], v0 offset0:96 offset1:176
	;; [unrolled: 1-line block ×4, first 2 shown]
.LBB0_5:
	s_wait_alu 0xfffe
	s_or_b32 exec_lo, exec_lo, s2
	s_wait_dscnt 0x1
	v_dual_sub_f32 v18, v30, v18 :: v_dual_sub_f32 v19, v31, v19
	v_dual_sub_f32 v26, v22, v26 :: v_dual_sub_f32 v27, v23, v27
	;; [unrolled: 1-line block ×3, first 2 shown]
	s_delay_alu instid0(VALU_DEP_3) | instskip(NEXT) | instid1(VALU_DEP_4)
	v_fma_f32 v30, v30, 2.0, -v18
	v_fma_f32 v31, v31, 2.0, -v19
	s_delay_alu instid0(VALU_DEP_4) | instskip(SKIP_4) | instid1(VALU_DEP_3)
	v_fma_f32 v22, v22, 2.0, -v26
	v_fma_f32 v23, v23, 2.0, -v27
	s_wait_dscnt 0x0
	v_dual_sub_f32 v28, v16, v28 :: v_dual_sub_f32 v29, v17, v29
	v_fma_f32 v20, v20, 2.0, -v24
	v_dual_sub_f32 v32, v30, v22 :: v_dual_sub_f32 v33, v31, v23
	s_delay_alu instid0(VALU_DEP_3) | instskip(SKIP_2) | instid1(VALU_DEP_4)
	v_fma_f32 v16, v16, 2.0, -v28
	v_sub_f32_e32 v34, v18, v27
	v_fma_f32 v21, v21, 2.0, -v25
	v_fma_f32 v22, v30, 2.0, -v32
	v_fma_f32 v23, v31, 2.0, -v33
	v_add_f32_e32 v31, v19, v26
	v_sub_f32_e32 v27, v20, v16
	v_fma_f32 v17, v17, 2.0, -v29
	v_fma_f32 v26, v18, 2.0, -v34
	v_dual_sub_f32 v12, v8, v12 :: v_dual_sub_f32 v5, v1, v5
	v_fma_f32 v35, v19, 2.0, -v31
	v_add_f32_e32 v28, v25, v28
	v_fma_f32 v16, v20, 2.0, -v27
	v_dual_sub_f32 v4, v0, v4 :: v_dual_sub_f32 v15, v11, v15
	v_fma_f32 v8, v8, 2.0, -v12
	s_delay_alu instid0(VALU_DEP_4) | instskip(SKIP_1) | instid1(VALU_DEP_4)
	v_fma_f32 v20, v25, 2.0, -v28
	v_dual_sub_f32 v6, v2, v6 :: v_dual_sub_f32 v7, v3, v7
	v_fma_f32 v0, v0, 2.0, -v4
	v_fma_f32 v1, v1, 2.0, -v5
	s_delay_alu instid0(VALU_DEP_4)
	v_fmamk_f32 v19, v20, 0xbf3504f3, v35
	v_sub_f32_e32 v30, v24, v29
	v_fma_f32 v11, v11, 2.0, -v15
	v_fma_f32 v3, v3, 2.0, -v7
	s_load_b64 s[0:1], s[0:1], 0x8
	v_add_lshl_u32 v103, v100, v101, 3
	v_fma_f32 v24, v24, 2.0, -v30
	v_sub_f32_e32 v29, v21, v17
	global_wb scope:SCOPE_SE
	s_wait_kmcnt 0x0
	s_barrier_signal -1
	s_barrier_wait -1
	v_fmamk_f32 v18, v24, 0xbf3504f3, v26
	v_fma_f32 v17, v21, 2.0, -v29
	v_sub_f32_e32 v16, v22, v16
	v_dual_fmac_f32 v19, 0x3f3504f3, v24 :: v_dual_sub_f32 v14, v10, v14
	s_delay_alu instid0(VALU_DEP_3) | instskip(NEXT) | instid1(VALU_DEP_3)
	v_dual_fmac_f32 v18, 0xbf3504f3, v20 :: v_dual_sub_f32 v17, v23, v17
	v_fma_f32 v20, v22, 2.0, -v16
	v_sub_f32_e32 v13, v9, v13
	s_delay_alu instid0(VALU_DEP_4) | instskip(NEXT) | instid1(VALU_DEP_4)
	v_fma_f32 v10, v10, 2.0, -v14
	v_fma_f32 v22, v26, 2.0, -v18
	v_dual_fmamk_f32 v26, v30, 0x3f3504f3, v34 :: v_dual_add_f32 v25, v33, v27
	v_fmamk_f32 v27, v28, 0x3f3504f3, v31
	v_sub_f32_e32 v24, v32, v29
	v_fma_f32 v9, v9, 2.0, -v13
	s_delay_alu instid0(VALU_DEP_4)
	v_fmac_f32_e32 v26, 0xbf3504f3, v28
	v_fma_f32 v29, v33, 2.0, -v25
	v_fmac_f32_e32 v27, 0x3f3504f3, v30
	v_fma_f32 v28, v32, 2.0, -v24
	v_dual_sub_f32 v32, v8, v0 :: v_dual_sub_f32 v33, v9, v1
	v_fma_f32 v30, v34, 2.0, -v26
	v_fma_f32 v34, v2, 2.0, -v6
	v_sub_f32_e32 v5, v12, v5
	s_delay_alu instid0(VALU_DEP_4) | instskip(SKIP_1) | instid1(VALU_DEP_4)
	v_fma_f32 v0, v8, 2.0, -v32
	v_dual_add_f32 v4, v4, v13 :: v_dual_sub_f32 v7, v14, v7
	v_sub_f32_e32 v8, v10, v34
	v_fma_f32 v1, v9, 2.0, -v33
	v_fma_f32 v2, v12, 2.0, -v5
	;; [unrolled: 1-line block ×5, first 2 shown]
	v_sub_f32_e32 v9, v11, v3
	v_fma_f32 v3, v13, 2.0, -v4
	v_add_f32_e32 v6, v6, v15
	v_fma_f32 v23, v35, 2.0, -v19
	v_sub_f32_e32 v40, v0, v10
	v_fma_f32 v11, v11, 2.0, -v9
	v_fmamk_f32 v42, v12, 0xbf3504f3, v2
	v_fma_f32 v13, v15, 2.0, -v6
	v_lshlrev_b32_e32 v104, 3, v89
	v_fma_f32 v31, v31, 2.0, -v27
	v_sub_f32_e32 v41, v1, v11
	global_inv scope:SCOPE_SE
	v_fmamk_f32 v43, v13, 0xbf3504f3, v3
	v_dual_fmamk_f32 v46, v7, 0x3f3504f3, v5 :: v_dual_fmamk_f32 v47, v6, 0x3f3504f3, v4
	v_sub_f32_e32 v44, v32, v9
	v_add_f32_e32 v45, v8, v33
	v_fmac_f32_e32 v42, 0xbf3504f3, v13
	s_delay_alu instid0(VALU_DEP_4)
	v_fmac_f32_e32 v46, 0xbf3504f3, v6
	v_fmac_f32_e32 v47, 0x3f3504f3, v7
	;; [unrolled: 1-line block ×3, first 2 shown]
	v_fma_f32 v48, v32, 2.0, -v44
	v_fma_f32 v49, v33, 2.0, -v45
	;; [unrolled: 1-line block ×4, first 2 shown]
	ds_store_b128 v103, v[20:23]
	ds_store_b128 v103, v[28:31] offset:16
	ds_store_b128 v103, v[16:19] offset:32
	;; [unrolled: 1-line block ×3, first 2 shown]
	s_and_saveexec_b32 s2, vcc_lo
	s_cbranch_execz .LBB0_7
; %bb.6:
	v_fma_f32 v3, v3, 2.0, -v43
	v_fma_f32 v2, v2, 2.0, -v42
	;; [unrolled: 1-line block ×4, first 2 shown]
	v_add_lshl_u32 v4, v100, v104, 3
	ds_store_b128 v4, v[0:3]
	ds_store_b128 v4, v[48:51] offset:16
	ds_store_b128 v4, v[40:43] offset:32
	ds_store_b128 v4, v[44:47] offset:48
.LBB0_7:
	s_wait_alu 0xfffe
	s_or_b32 exec_lo, exec_lo, s2
	v_and_b32_e32 v36, 7, v98
	global_wb scope:SCOPE_SE
	s_wait_dscnt 0x0
	s_barrier_signal -1
	s_barrier_wait -1
	global_inv scope:SCOPE_SE
	v_mad_co_u64_u32 v[4:5], null, 0x48, v36, s[0:1]
	v_lshrrev_b32_e32 v28, 3, v98
	s_clause 0x4
	global_load_b128 v[24:27], v[4:5], off
	global_load_b128 v[20:23], v[4:5], off offset:16
	global_load_b128 v[16:19], v[4:5], off offset:32
	;; [unrolled: 1-line block ×3, first 2 shown]
	global_load_b64 v[87:88], v[4:5], off offset:64
	ds_load_2addr_stride64_b64 v[4:7], v97 offset0:1 offset1:2
	ds_load_2addr_stride64_b64 v[8:11], v97 offset0:3 offset1:4
	ds_load_b64 v[32:33], v99
	ds_load_2addr_stride64_b64 v[12:15], v97 offset0:5 offset1:6
	v_mul_u32_u24_e32 v37, 0x50, v28
	ds_load_2addr_stride64_b64 v[28:31], v97 offset0:7 offset1:8
	ds_load_b64 v[34:35], v97 offset:4608
	v_add_nc_u32_e32 v105, 0x800, v97
	v_add_nc_u32_e32 v106, 0x400, v97
	global_wb scope:SCOPE_SE
	s_wait_loadcnt_dscnt 0x0
	v_or_b32_e32 v36, v37, v36
	s_barrier_signal -1
	s_barrier_wait -1
	global_inv scope:SCOPE_SE
	v_add_lshl_u32 v102, v100, v36, 3
	v_dual_mul_f32 v39, v6, v27 :: v_dual_mul_f32 v36, v5, v25
	v_mul_f32_e32 v55, v10, v23
	v_dual_mul_f32 v38, v7, v27 :: v_dual_mul_f32 v37, v4, v25
	v_dual_mul_f32 v53, v8, v21 :: v_dual_mul_f32 v54, v11, v23
	;; [unrolled: 1-line block ×5, first 2 shown]
	v_fma_f32 v36, v4, v24, -v36
	v_fma_f32 v4, v6, v26, -v38
	v_dual_mul_f32 v52, v9, v21 :: v_dual_mul_f32 v59, v14, v19
	v_dual_mul_f32 v57, v12, v17 :: v_dual_mul_f32 v58, v15, v19
	v_fmac_f32_e32 v39, v7, v26
	v_fma_f32 v6, v10, v22, -v54
	v_fmac_f32_e32 v53, v9, v20
	v_fma_f32 v7, v12, v16, -v56
	v_fma_f32 v10, v30, v2, -v62
	v_dual_fmac_f32 v65, v35, v87 :: v_dual_add_f32 v12, v32, v4
	v_dual_mul_f32 v64, v35, v88 :: v_dual_add_f32 v35, v33, v39
	s_delay_alu instid0(VALU_DEP_3)
	v_dual_fmac_f32 v57, v13, v16 :: v_dual_add_f32 v30, v4, v10
	v_fma_f32 v9, v28, v0, -v60
	v_sub_f32_e32 v28, v4, v6
	v_fmac_f32_e32 v63, v31, v2
	v_dual_sub_f32 v31, v6, v4 :: v_dual_sub_f32 v4, v4, v10
	v_sub_f32_e32 v66, v53, v65
	v_fmac_f32_e32 v37, v5, v24
	v_fma_f32 v5, v8, v20, -v52
	v_fma_f32 v8, v14, v18, -v58
	v_sub_f32_e32 v14, v39, v63
	v_fmac_f32_e32 v55, v11, v22
	s_delay_alu instid0(VALU_DEP_4)
	v_dual_fmac_f32 v59, v15, v18 :: v_dual_add_f32 v62, v36, v5
	v_fmac_f32_e32 v61, v29, v0
	v_fma_f32 v11, v34, v87, -v64
	v_sub_f32_e32 v34, v8, v10
	v_sub_f32_e32 v52, v6, v8
	v_dual_add_f32 v13, v6, v8 :: v_dual_add_f32 v38, v55, v59
	v_dual_sub_f32 v15, v55, v59 :: v_dual_add_f32 v96, v57, v61
	v_dual_sub_f32 v29, v10, v8 :: v_dual_sub_f32 v54, v39, v55
	v_sub_f32_e32 v56, v63, v59
	v_dual_add_f32 v58, v39, v63 :: v_dual_sub_f32 v67, v57, v61
	v_dual_sub_f32 v39, v55, v39 :: v_dual_sub_f32 v108, v53, v57
	v_dual_sub_f32 v60, v59, v63 :: v_dual_add_f32 v95, v37, v53
	v_add_f32_e32 v64, v7, v9
	v_dual_add_f32 v92, v5, v11 :: v_dual_sub_f32 v93, v7, v5
	v_add_f32_e32 v110, v53, v65
	v_dual_sub_f32 v90, v5, v7 :: v_dual_sub_f32 v91, v11, v9
	v_dual_sub_f32 v94, v9, v11 :: v_dual_sub_f32 v107, v7, v9
	v_sub_f32_e32 v5, v5, v11
	v_dual_sub_f32 v109, v65, v61 :: v_dual_add_f32 v6, v12, v6
	v_sub_f32_e32 v53, v57, v53
	v_sub_f32_e32 v111, v61, v65
	v_fma_f32 v112, -0.5, v13, v32
	v_add_f32_e32 v12, v28, v29
	v_fma_f32 v29, -0.5, v30, v32
	v_add_f32_e32 v13, v31, v34
	v_add_f32_e32 v28, v35, v55
	v_fma_f32 v32, -0.5, v38, v33
	v_dual_fmac_f32 v33, -0.5, v58 :: v_dual_add_f32 v30, v54, v56
	v_dual_add_f32 v31, v39, v60 :: v_dual_add_f32 v38, v93, v94
	v_add_f32_e32 v7, v62, v7
	v_fma_f32 v34, -0.5, v64, v36
	v_dual_fmac_f32 v36, -0.5, v92 :: v_dual_add_f32 v39, v95, v57
	v_add_f32_e32 v6, v6, v8
	v_fma_f32 v54, -0.5, v96, v37
	v_dual_fmac_f32 v37, -0.5, v110 :: v_dual_add_f32 v8, v28, v59
	v_fmamk_f32 v59, v52, 0x3f737871, v33
	v_dual_fmac_f32 v33, 0xbf737871, v52 :: v_dual_fmamk_f32 v28, v67, 0xbf737871, v36
	s_delay_alu instid0(VALU_DEP_4) | instskip(SKIP_3) | instid1(VALU_DEP_3)
	v_dual_add_f32 v7, v7, v9 :: v_dual_fmamk_f32 v60, v5, 0xbf737871, v54
	v_dual_fmac_f32 v36, 0x3f737871, v67 :: v_dual_add_f32 v39, v39, v61
	v_add_f32_e32 v6, v6, v10
	v_dual_fmac_f32 v54, 0x3f737871, v5 :: v_dual_fmamk_f32 v61, v107, 0x3f737871, v37
	v_dual_fmac_f32 v37, 0xbf737871, v107 :: v_dual_add_f32 v10, v39, v65
	v_add_f32_e32 v35, v90, v91
	v_dual_add_f32 v55, v108, v109 :: v_dual_fmamk_f32 v56, v14, 0x3f737871, v112
	v_dual_add_f32 v53, v53, v111 :: v_dual_fmamk_f32 v58, v4, 0xbf737871, v32
	v_dual_fmac_f32 v112, 0xbf737871, v14 :: v_dual_fmamk_f32 v57, v15, 0xbf737871, v29
	v_dual_fmac_f32 v29, 0x3f737871, v15 :: v_dual_fmac_f32 v32, 0x3f737871, v4
	v_dual_fmamk_f32 v9, v66, 0x3f737871, v34 :: v_dual_add_f32 v8, v8, v63
	v_fmac_f32_e32 v34, 0xbf737871, v66
	v_dual_fmac_f32 v36, 0xbf167918, v66 :: v_dual_fmac_f32 v61, 0xbf167918, v5
	v_dual_fmac_f32 v54, 0x3f167918, v107 :: v_dual_fmac_f32 v37, 0x3f167918, v5
	;; [unrolled: 1-line block ×8, first 2 shown]
	v_fmac_f32_e32 v54, 0x3e9e377a, v55
	v_dual_fmac_f32 v58, 0xbf167918, v52 :: v_dual_add_f32 v7, v7, v11
	v_dual_fmac_f32 v60, 0xbf167918, v107 :: v_dual_add_f32 v5, v8, v10
	v_dual_fmac_f32 v56, 0x3e9e377a, v12 :: v_dual_fmac_f32 v57, 0x3e9e377a, v13
	v_dual_fmac_f32 v112, 0x3e9e377a, v12 :: v_dual_fmac_f32 v29, 0x3e9e377a, v13
	;; [unrolled: 1-line block ×5, first 2 shown]
	v_mul_f32_e32 v11, 0x3e9e377a, v37
	v_mul_f32_e32 v12, 0x3f4f1bbd, v54
	v_dual_fmac_f32 v58, 0x3e9e377a, v30 :: v_dual_fmac_f32 v59, 0x3e9e377a, v31
	v_fmac_f32_e32 v60, 0x3e9e377a, v55
	v_dual_add_f32 v4, v6, v7 :: v_dual_mul_f32 v31, 0x3f737871, v61
	v_dual_sub_f32 v6, v6, v7 :: v_dual_mul_f32 v35, 0xbf167918, v9
	v_sub_f32_e32 v7, v8, v10
	v_mul_f32_e32 v10, 0x3f4f1bbd, v34
	v_fma_f32 v34, 0xbf167918, v34, -v12
	v_mul_f32_e32 v38, 0xbf737871, v28
	v_fmac_f32_e32 v35, 0x3f4f1bbd, v60
	v_mul_f32_e32 v30, 0x3f167918, v60
	v_fma_f32 v39, 0x3f167918, v54, -v10
	v_add_f32_e32 v15, v32, v34
	v_dual_fmac_f32 v31, 0x3e9e377a, v28 :: v_dual_fmac_f32 v38, 0x3e9e377a, v61
	v_mul_f32_e32 v8, 0x3e9e377a, v36
	v_fmac_f32_e32 v30, 0x3f4f1bbd, v9
	v_fma_f32 v36, 0xbf737871, v36, -v11
	v_add_f32_e32 v9, v58, v35
	v_add_f32_e32 v11, v59, v38
	v_fma_f32 v37, 0x3f737871, v37, -v8
	v_add_f32_e32 v10, v57, v31
	v_dual_add_f32 v13, v33, v36 :: v_dual_add_f32 v14, v112, v39
	v_sub_f32_e32 v54, v112, v39
	s_delay_alu instid0(VALU_DEP_4)
	v_dual_add_f32 v12, v29, v37 :: v_dual_sub_f32 v55, v32, v34
	v_dual_sub_f32 v52, v29, v37 :: v_dual_sub_f32 v29, v58, v35
	v_dual_add_f32 v8, v56, v30 :: v_dual_sub_f32 v53, v33, v36
	v_sub_f32_e32 v28, v56, v30
	v_dual_sub_f32 v30, v57, v31 :: v_dual_sub_f32 v31, v59, v38
	ds_store_2addr_b64 v102, v[4:5], v[8:9] offset1:8
	ds_store_2addr_b64 v102, v[10:11], v[12:13] offset0:16 offset1:24
	ds_store_2addr_b64 v102, v[14:15], v[6:7] offset0:32 offset1:40
	;; [unrolled: 1-line block ×4, first 2 shown]
	global_wb scope:SCOPE_SE
	s_wait_dscnt 0x0
	s_barrier_signal -1
	s_barrier_wait -1
	global_inv scope:SCOPE_SE
	ds_load_2addr_b64 v[64:67], v97 offset0:80 offset1:160
	ds_load_2addr_b64 v[60:63], v106 offset0:112 offset1:192
	;; [unrolled: 1-line block ×3, first 2 shown]
	ds_load_b64 v[93:94], v99
	ds_load_b64 v[95:96], v97 offset:4480
	s_and_saveexec_b32 s2, vcc_lo
	s_cbranch_execz .LBB0_9
; %bb.8:
	v_add_nc_u32_e32 v4, 0x1000, v97
	ds_load_2addr_b64 v[52:55], v97 offset0:64 offset1:144
	ds_load_2addr_b64 v[48:51], v106 offset0:96 offset1:176
	;; [unrolled: 1-line block ×4, first 2 shown]
.LBB0_9:
	s_wait_alu 0xfffe
	s_or_b32 exec_lo, exec_lo, s2
	v_mad_co_u64_u32 v[4:5], null, v98, 56, s[0:1]
	s_clause 0x3
	global_load_b128 v[36:39], v[4:5], off offset:576
	global_load_b128 v[32:35], v[4:5], off offset:592
	;; [unrolled: 1-line block ×3, first 2 shown]
	global_load_b64 v[91:92], v[4:5], off offset:624
	s_wait_loadcnt_dscnt 0x304
	v_dual_mul_f32 v107, v65, v37 :: v_dual_add_nc_u32 v4, -16, v98
	s_delay_alu instid0(VALU_DEP_1)
	v_dual_cndmask_b32 v4, v4, v89 :: v_dual_mul_f32 v109, v67, v39
	s_wait_loadcnt_dscnt 0x203
	v_dual_mul_f32 v108, v64, v37 :: v_dual_mul_f32 v113, v63, v35
	s_wait_loadcnt_dscnt 0x102
	v_dual_mul_f32 v112, v60, v33 :: v_dual_mul_f32 v117, v59, v31
	v_mul_i32_i24_e32 v5, 56, v4
	v_mul_hi_i32_i24_e32 v4, 56, v4
	v_dual_mul_f32 v114, v62, v35 :: v_dual_mul_f32 v115, v57, v29
	v_dual_mul_f32 v110, v66, v39 :: v_dual_mul_f32 v111, v61, v33
	s_delay_alu instid0(VALU_DEP_4)
	v_add_co_u32 v89, s0, s0, v5
	s_wait_alu 0xf1ff
	v_add_co_ci_u32_e64 v90, s0, s1, v4, s0
	s_clause 0x3
	global_load_b128 v[8:11], v[89:90], off offset:576
	global_load_b128 v[4:7], v[89:90], off offset:592
	;; [unrolled: 1-line block ×3, first 2 shown]
	global_load_b64 v[89:90], v[89:90], off offset:624
	s_wait_loadcnt_dscnt 0x400
	v_dual_mul_f32 v118, v58, v31 :: v_dual_mul_f32 v119, v96, v92
	v_fmac_f32_e32 v108, v65, v36
	v_fmac_f32_e32 v112, v61, v32
	v_fma_f32 v61, v62, v34, -v113
	v_mul_f32_e32 v120, v95, v92
	v_fmac_f32_e32 v114, v63, v34
	v_mul_f32_e32 v116, v56, v29
	v_fma_f32 v65, v66, v38, -v109
	v_dual_fmac_f32 v118, v59, v30 :: v_dual_sub_f32 v59, v93, v61
	s_delay_alu instid0(VALU_DEP_4) | instskip(NEXT) | instid1(VALU_DEP_4)
	v_dual_fmac_f32 v120, v96, v91 :: v_dual_sub_f32 v61, v94, v114
	v_fmac_f32_e32 v116, v57, v28
	v_fma_f32 v57, v58, v30, -v117
	v_fmac_f32_e32 v110, v67, v38
	v_fma_f32 v64, v64, v36, -v107
	v_fma_f32 v60, v60, v32, -v111
	;; [unrolled: 1-line block ×3, first 2 shown]
	v_sub_f32_e32 v57, v65, v57
	v_fma_f32 v58, v95, v91, -v119
	v_fma_f32 v94, v94, 2.0, -v61
	v_fma_f32 v93, v93, 2.0, -v59
	v_sub_f32_e32 v56, v64, v56
	v_fma_f32 v65, v65, 2.0, -v57
	s_wait_loadcnt 0x3
	v_dual_sub_f32 v58, v60, v58 :: v_dual_mul_f32 v67, v55, v9
	v_mul_f32_e32 v95, v54, v9
	s_wait_loadcnt 0x1
	v_mul_f32_e32 v117, v45, v15
	v_mul_f32_e32 v107, v48, v11
	v_sub_f32_e32 v63, v108, v116
	v_dual_mul_f32 v109, v51, v5 :: v_dual_sub_f32 v66, v112, v120
	s_wait_loadcnt 0x0
	v_mul_f32_e32 v119, v47, v90
	v_mul_f32_e32 v111, v50, v5
	v_dual_sub_f32 v62, v110, v118 :: v_dual_mul_f32 v113, v41, v7
	v_dual_mul_f32 v116, v42, v13 :: v_dual_fmac_f32 v107, v49, v10
	s_delay_alu instid0(VALU_DEP_2)
	v_dual_mul_f32 v96, v49, v11 :: v_dual_sub_f32 v121, v59, v62
	v_dual_mul_f32 v114, v40, v7 :: v_dual_fmac_f32 v95, v55, v8
	v_dual_mul_f32 v115, v43, v13 :: v_dual_mul_f32 v118, v44, v15
	v_fmac_f32_e32 v111, v51, v4
	v_fma_f32 v110, v110, 2.0, -v62
	v_fma_f32 v108, v108, 2.0, -v63
	;; [unrolled: 1-line block ×3, first 2 shown]
	v_mul_f32_e32 v120, v46, v90
	v_fma_f32 v49, v50, v4, -v109
	v_fmac_f32_e32 v116, v43, v12
	v_fma_f32 v43, v46, v89, -v119
	v_add_f32_e32 v122, v61, v57
	v_fma_f32 v54, v54, v8, -v67
	v_dual_sub_f32 v51, v108, v112 :: v_dual_fmac_f32 v120, v47, v89
	v_fmac_f32_e32 v118, v45, v14
	v_sub_f32_e32 v45, v94, v110
	v_dual_sub_f32 v62, v56, v66 :: v_dual_sub_f32 v43, v49, v43
	v_dual_fmac_f32 v114, v41, v6 :: v_dual_sub_f32 v109, v95, v116
	v_fma_f32 v41, v42, v12, -v115
	v_add_f32_e32 v66, v63, v58
	v_fma_f32 v64, v64, 2.0, -v56
	v_fma_f32 v60, v60, 2.0, -v58
	v_fma_f32 v48, v48, v10, -v96
	v_sub_f32_e32 v41, v54, v41
	v_fma_f32 v40, v40, v6, -v113
	v_fma_f32 v42, v44, v14, -v117
	v_sub_f32_e32 v44, v93, v65
	v_fma_f32 v47, v61, 2.0, -v122
	v_fma_f32 v65, v63, 2.0, -v66
	;; [unrolled: 1-line block ×3, first 2 shown]
	v_dual_fmamk_f32 v57, v66, 0x3f3504f3, v122 :: v_dual_sub_f32 v50, v64, v60
	v_fma_f32 v94, v94, 2.0, -v45
	v_fma_f32 v108, v108, 2.0, -v51
	v_dual_sub_f32 v42, v48, v42 :: v_dual_fmamk_f32 v59, v65, 0xbf3504f3, v47
	v_sub_f32_e32 v67, v111, v120
	v_dual_sub_f32 v40, v52, v40 :: v_dual_sub_f32 v63, v107, v118
	v_sub_f32_e32 v96, v53, v114
	v_fma_f32 v55, v56, 2.0, -v62
	v_fma_f32 v93, v93, 2.0, -v44
	v_dual_sub_f32 v60, v44, v51 :: v_dual_fmac_f32 v57, 0x3f3504f3, v62
	v_dual_fmamk_f32 v56, v62, 0x3f3504f3, v121 :: v_dual_add_f32 v61, v45, v50
	v_fma_f32 v64, v64, 2.0, -v50
	v_fma_f32 v51, v53, 2.0, -v96
	;; [unrolled: 1-line block ×6, first 2 shown]
	v_sub_f32_e32 v111, v41, v67
	v_fma_f32 v50, v52, 2.0, -v40
	v_fma_f32 v52, v107, 2.0, -v63
	v_sub_f32_e32 v107, v40, v63
	v_sub_f32_e32 v63, v94, v108
	v_fma_f32 v48, v48, 2.0, -v42
	v_dual_add_f32 v110, v96, v42 :: v_dual_fmac_f32 v59, 0x3f3504f3, v55
	v_sub_f32_e32 v62, v93, v64
	v_fma_f32 v64, v44, 2.0, -v60
	v_fmamk_f32 v42, v111, 0x3f3504f3, v107
	s_delay_alu instid0(VALU_DEP_4)
	v_fma_f32 v108, v96, 2.0, -v110
	v_sub_f32_e32 v44, v50, v48
	v_sub_f32_e32 v48, v53, v49
	v_fmamk_f32 v58, v55, 0xbf3504f3, v46
	v_fma_f32 v55, v40, 2.0, -v107
	v_sub_f32_e32 v40, v54, v95
	v_fma_f32 v96, v47, 2.0, -v59
	v_fma_f32 v94, v94, 2.0, -v63
	v_fmac_f32_e32 v58, 0xbf3504f3, v65
	v_fma_f32 v65, v45, 2.0, -v61
	v_sub_f32_e32 v45, v51, v52
	v_fma_f32 v52, v41, 2.0, -v111
	v_add_f32_e32 v112, v109, v43
	v_fma_f32 v95, v46, 2.0, -v58
	v_fma_f32 v47, v54, 2.0, -v40
	;; [unrolled: 1-line block ×3, first 2 shown]
	v_fmac_f32_e32 v56, 0xbf3504f3, v66
	v_fma_f32 v109, v109, 2.0, -v112
	v_fma_f32 v67, v122, 2.0, -v57
	s_delay_alu instid0(VALU_DEP_4) | instskip(NEXT) | instid1(VALU_DEP_4)
	v_sub_f32_e32 v49, v114, v47
	v_fma_f32 v66, v121, 2.0, -v56
	s_delay_alu instid0(VALU_DEP_4) | instskip(SKIP_3) | instid1(VALU_DEP_4)
	v_fmamk_f32 v51, v109, 0xbf3504f3, v108
	v_fma_f32 v113, v50, 2.0, -v44
	v_fmamk_f32 v50, v52, 0xbf3504f3, v55
	v_sub_f32_e32 v40, v44, v40
	v_fmac_f32_e32 v51, 0x3f3504f3, v52
	v_fmamk_f32 v43, v112, 0x3f3504f3, v110
	v_fmac_f32_e32 v42, 0xbf3504f3, v112
	v_fmac_f32_e32 v50, 0xbf3504f3, v109
	v_fma_f32 v93, v93, 2.0, -v62
	v_fma_f32 v44, v44, 2.0, -v40
	v_fmac_f32_e32 v43, 0x3f3504f3, v111
	v_fma_f32 v46, v53, 2.0, -v48
	v_add_f32_e32 v41, v45, v48
	v_fma_f32 v53, v114, 2.0, -v49
	v_fma_f32 v54, v55, 2.0, -v50
	;; [unrolled: 1-line block ×3, first 2 shown]
	v_sub_f32_e32 v48, v113, v46
	v_fma_f32 v45, v45, 2.0, -v41
	v_fma_f32 v46, v107, 2.0, -v42
	;; [unrolled: 1-line block ×3, first 2 shown]
	ds_store_b64 v99, v[93:94]
	ds_store_2addr_b64 v97, v[95:96], v[64:65] offset0:80 offset1:160
	ds_store_2addr_b64 v106, v[66:67], v[62:63] offset0:112 offset1:192
	;; [unrolled: 1-line block ×3, first 2 shown]
	ds_store_b64 v97, v[56:57] offset:4480
	v_fma_f32 v52, v113, 2.0, -v48
	s_and_saveexec_b32 s0, vcc_lo
	s_cbranch_execz .LBB0_11
; %bb.10:
	v_add_nc_u32_e32 v56, 0x400, v97
	v_add_nc_u32_e32 v57, 0x800, v97
	;; [unrolled: 1-line block ×3, first 2 shown]
	ds_store_2addr_b64 v97, v[52:53], v[54:55] offset0:64 offset1:144
	ds_store_2addr_b64 v56, v[44:45], v[46:47] offset0:96 offset1:176
	;; [unrolled: 1-line block ×4, first 2 shown]
.LBB0_11:
	s_wait_alu 0xfffe
	s_or_b32 exec_lo, exec_lo, s0
	global_wb scope:SCOPE_SE
	s_wait_dscnt 0x0
	s_barrier_signal -1
	s_barrier_wait -1
	global_inv scope:SCOPE_SE
	global_load_b64 v[56:57], v[68:69], off offset:5120
	s_add_nc_u64 s[0:1], s[12:13], 0x1400
	s_clause 0x6
	global_load_b64 v[61:62], v101, s[0:1] offset:640
	global_load_b64 v[65:66], v101, s[0:1] offset:1280
	;; [unrolled: 1-line block ×7, first 2 shown]
	ds_load_b64 v[58:59], v99
	s_wait_loadcnt_dscnt 0x700
	v_mul_f32_e32 v60, v59, v57
	v_mul_f32_e32 v64, v58, v57
	s_delay_alu instid0(VALU_DEP_2) | instskip(NEXT) | instid1(VALU_DEP_2)
	v_fma_f32 v63, v58, v56, -v60
	v_fmac_f32_e32 v64, v59, v56
	ds_store_b64 v99, v[63:64]
	ds_load_2addr_b64 v[57:60], v97 offset0:80 offset1:160
	v_add_nc_u32_e32 v56, 0x400, v97
	s_wait_loadcnt_dscnt 0x500
	v_dual_mul_f32 v67, v59, v66 :: v_dual_add_nc_u32 v64, 0x800, v97
	ds_load_2addr_b64 v[93:96], v56 offset0:112 offset1:192
	ds_load_2addr_b64 v[105:108], v64 offset0:144 offset1:224
	ds_load_b64 v[119:120], v97 offset:4480
	v_mul_f32_e32 v121, v58, v62
	v_mul_f32_e32 v63, v57, v62
	;; [unrolled: 1-line block ×3, first 2 shown]
	v_fmac_f32_e32 v67, v60, v65
	s_delay_alu instid0(VALU_DEP_4) | instskip(NEXT) | instid1(VALU_DEP_4)
	v_fma_f32 v62, v57, v61, -v121
	v_fmac_f32_e32 v63, v58, v61
	s_delay_alu instid0(VALU_DEP_4)
	v_fma_f32 v66, v59, v65, -v123
	s_wait_loadcnt_dscnt 0x302
	v_dual_mul_f32 v125, v96, v112 :: v_dual_mul_f32 v124, v94, v110
	s_wait_loadcnt_dscnt 0x101
	v_dual_mul_f32 v127, v108, v116 :: v_dual_mul_f32 v122, v93, v110
	v_mul_f32_e32 v110, v95, v112
	v_mul_f32_e32 v126, v106, v114
	;; [unrolled: 1-line block ×4, first 2 shown]
	s_wait_loadcnt_dscnt 0x0
	v_mul_f32_e32 v128, v120, v118
	v_mul_f32_e32 v116, v119, v118
	v_fma_f32 v121, v93, v109, -v124
	v_fmac_f32_e32 v122, v94, v109
	v_fma_f32 v109, v95, v111, -v125
	v_fmac_f32_e32 v110, v96, v111
	;; [unrolled: 2-line block ×5, first 2 shown]
	ds_store_2addr_b64 v97, v[62:63], v[66:67] offset0:80 offset1:160
	ds_store_2addr_b64 v56, v[121:122], v[109:110] offset0:112 offset1:192
	ds_store_2addr_b64 v64, v[111:112], v[113:114] offset0:144 offset1:224
	ds_store_b64 v97, v[115:116] offset:4480
	s_and_saveexec_b32 s2, vcc_lo
	s_cbranch_execz .LBB0_13
; %bb.12:
	s_wait_alu 0xfffe
	v_add_co_u32 v57, s0, s0, v101
	s_wait_alu 0xf1ff
	v_add_co_ci_u32_e64 v58, null, s1, 0, s0
	s_clause 0x7
	global_load_b64 v[61:62], v[57:58], off offset:512
	global_load_b64 v[65:66], v[57:58], off offset:1152
	;; [unrolled: 1-line block ×8, first 2 shown]
	ds_load_2addr_b64 v[57:60], v97 offset0:64 offset1:144
	ds_load_2addr_b64 v[93:96], v56 offset0:96 offset1:176
	s_wait_loadcnt_dscnt 0x701
	v_dual_mul_f32 v126, v58, v62 :: v_dual_add_nc_u32 v101, 0x1000, v97
	ds_load_2addr_b64 v[105:108], v64 offset0:128 offset1:208
	ds_load_2addr_b64 v[109:112], v101 offset0:32 offset1:112
	v_mul_f32_e32 v63, v57, v62
	s_wait_loadcnt_dscnt 0x402
	v_dual_mul_f32 v128, v94, v114 :: v_dual_mul_f32 v129, v96, v116
	v_dual_mul_f32 v125, v93, v114 :: v_dual_mul_f32 v114, v95, v116
	v_mul_f32_e32 v127, v60, v66
	v_mul_f32_e32 v67, v59, v66
	v_fma_f32 v62, v57, v61, -v126
	s_delay_alu instid0(VALU_DEP_4) | instskip(SKIP_1) | instid1(VALU_DEP_3)
	v_dual_fmac_f32 v63, v58, v61 :: v_dual_fmac_f32 v114, v96, v115
	s_wait_loadcnt_dscnt 0x301
	v_dual_fmac_f32 v67, v60, v65 :: v_dual_mul_f32 v130, v106, v118
	s_wait_loadcnt 0x2
	v_dual_mul_f32 v131, v108, v120 :: v_dual_mul_f32 v116, v105, v118
	s_wait_loadcnt_dscnt 0x0
	v_mul_f32_e32 v133, v112, v124
	v_mul_f32_e32 v118, v107, v120
	;; [unrolled: 1-line block ×5, first 2 shown]
	v_fma_f32 v66, v59, v65, -v127
	v_fma_f32 v124, v93, v113, -v128
	v_dual_fmac_f32 v125, v94, v113 :: v_dual_fmac_f32 v118, v108, v119
	v_fma_f32 v113, v95, v115, -v129
	v_fma_f32 v115, v105, v117, -v130
	v_fmac_f32_e32 v116, v106, v117
	v_fma_f32 v117, v107, v119, -v131
	v_fma_f32 v119, v109, v121, -v132
	v_fmac_f32_e32 v120, v110, v121
	v_fma_f32 v121, v111, v123, -v133
	v_fmac_f32_e32 v122, v112, v123
	ds_store_2addr_b64 v97, v[62:63], v[66:67] offset0:64 offset1:144
	ds_store_2addr_b64 v56, v[124:125], v[113:114] offset0:96 offset1:176
	ds_store_2addr_b64 v64, v[115:116], v[117:118] offset0:128 offset1:208
	ds_store_2addr_b64 v101, v[119:120], v[121:122] offset0:32 offset1:112
.LBB0_13:
	s_wait_alu 0xfffe
	s_or_b32 exec_lo, exec_lo, s2
	global_wb scope:SCOPE_SE
	s_wait_dscnt 0x0
	s_barrier_signal -1
	s_barrier_wait -1
	global_inv scope:SCOPE_SE
	ds_load_2addr_b64 v[60:63], v97 offset0:80 offset1:160
	ds_load_2addr_b64 v[56:59], v56 offset0:112 offset1:192
	;; [unrolled: 1-line block ×3, first 2 shown]
	ds_load_b64 v[95:96], v99
	ds_load_b64 v[93:94], v97 offset:4480
	s_and_saveexec_b32 s0, vcc_lo
	s_cbranch_execz .LBB0_15
; %bb.14:
	v_add_nc_u32_e32 v40, 0x400, v97
	v_add_nc_u32_e32 v41, 0x800, v97
	;; [unrolled: 1-line block ×3, first 2 shown]
	ds_load_2addr_b64 v[52:55], v97 offset0:64 offset1:144
	ds_load_2addr_b64 v[44:47], v40 offset0:96 offset1:176
	;; [unrolled: 1-line block ×4, first 2 shown]
.LBB0_15:
	s_wait_alu 0xfffe
	s_or_b32 exec_lo, exec_lo, s0
	s_wait_dscnt 0x1
	v_dual_sub_f32 v58, v95, v58 :: v_dual_sub_f32 v59, v96, v59
	v_dual_sub_f32 v66, v62, v66 :: v_dual_sub_f32 v67, v63, v67
	;; [unrolled: 1-line block ×3, first 2 shown]
	s_delay_alu instid0(VALU_DEP_3) | instskip(NEXT) | instid1(VALU_DEP_3)
	v_fma_f32 v95, v95, 2.0, -v58
	v_fma_f32 v62, v62, 2.0, -v66
	;; [unrolled: 1-line block ×4, first 2 shown]
	s_wait_dscnt 0x0
	v_dual_sub_f32 v93, v56, v93 :: v_dual_sub_f32 v94, v57, v94
	v_dual_sub_f32 v101, v95, v62 :: v_dual_add_f32 v106, v58, v67
	v_fma_f32 v60, v60, 2.0, -v64
	v_fma_f32 v61, v61, 2.0, -v65
	v_sub_f32_e32 v105, v96, v63
	v_fma_f32 v56, v56, 2.0, -v93
	v_fma_f32 v57, v57, 2.0, -v94
	;; [unrolled: 1-line block ×3, first 2 shown]
	v_add_f32_e32 v95, v64, v94
	v_fma_f32 v63, v96, 2.0, -v105
	v_sub_f32_e32 v96, v59, v66
	v_sub_f32_e32 v94, v61, v57
	v_fma_f32 v66, v58, 2.0, -v106
	v_sub_f32_e32 v67, v60, v56
	v_fma_f32 v64, v64, 2.0, -v95
	;; [unrolled: 2-line block ×3, first 2 shown]
	v_fma_f32 v107, v59, 2.0, -v96
	v_fma_f32 v56, v60, 2.0, -v67
	v_fmamk_f32 v58, v64, 0xbf3504f3, v66
	v_fma_f32 v60, v65, 2.0, -v93
	v_sub_f32_e32 v57, v63, v57
	v_dual_sub_f32 v49, v53, v49 :: v_dual_sub_f32 v50, v54, v50
	s_delay_alu instid0(VALU_DEP_3) | instskip(SKIP_3) | instid1(VALU_DEP_4)
	v_dual_sub_f32 v56, v62, v56 :: v_dual_fmamk_f32 v59, v60, 0xbf3504f3, v107
	v_fmac_f32_e32 v58, 0x3f3504f3, v60
	v_sub_f32_e32 v48, v52, v48
	v_sub_f32_e32 v40, v44, v40
	v_fma_f32 v60, v62, 2.0, -v56
	v_dual_sub_f32 v41, v45, v41 :: v_dual_sub_f32 v42, v46, v42
	v_fma_f32 v62, v66, 2.0, -v58
	v_dual_fmamk_f32 v66, v95, 0x3f3504f3, v106 :: v_dual_sub_f32 v65, v105, v67
	v_fmamk_f32 v67, v93, 0x3f3504f3, v96
	v_dual_fmac_f32 v59, 0xbf3504f3, v64 :: v_dual_add_f32 v64, v101, v94
	s_delay_alu instid0(VALU_DEP_3) | instskip(SKIP_1) | instid1(VALU_DEP_4)
	v_fmac_f32_e32 v66, 0x3f3504f3, v93
	v_fma_f32 v52, v52, 2.0, -v48
	v_fmac_f32_e32 v67, 0xbf3504f3, v95
	v_fma_f32 v53, v53, 2.0, -v49
	v_fma_f32 v44, v44, 2.0, -v40
	;; [unrolled: 1-line block ×3, first 2 shown]
	v_dual_sub_f32 v43, v47, v43 :: v_dual_add_f32 v108, v41, v48
	v_fma_f32 v61, v63, 2.0, -v57
	v_fma_f32 v63, v107, 2.0, -v59
	;; [unrolled: 1-line block ×4, first 2 shown]
	v_dual_sub_f32 v51, v55, v51 :: v_dual_sub_f32 v106, v52, v44
	v_fma_f32 v101, v54, 2.0, -v50
	v_sub_f32_e32 v107, v53, v45
	v_fma_f32 v44, v46, 2.0, -v42
	s_delay_alu instid0(VALU_DEP_4)
	v_dual_sub_f32 v109, v49, v40 :: v_dual_sub_f32 v110, v51, v42
	v_fma_f32 v54, v48, 2.0, -v108
	v_add_f32_e32 v48, v43, v50
	v_fma_f32 v94, v105, 2.0, -v65
	v_fma_f32 v105, v55, 2.0, -v51
	;; [unrolled: 1-line block ×3, first 2 shown]
	s_delay_alu instid0(VALU_DEP_4)
	v_dual_sub_f32 v45, v101, v44 :: v_dual_fmamk_f32 v46, v48, 0x3f3504f3, v108
	v_fma_f32 v55, v49, 2.0, -v109
	v_fma_f32 v49, v50, 2.0, -v48
	;; [unrolled: 1-line block ×3, first 2 shown]
	v_sub_f32_e32 v44, v105, v41
	v_fma_f32 v40, v101, 2.0, -v45
	s_delay_alu instid0(VALU_DEP_4)
	v_dual_sub_f32 v45, v107, v45 :: v_dual_fmamk_f32 v42, v49, 0xbf3504f3, v54
	v_fmamk_f32 v47, v110, 0x3f3504f3, v109
	v_fma_f32 v52, v52, 2.0, -v106
	v_fma_f32 v53, v53, 2.0, -v107
	v_fmamk_f32 v43, v50, 0xbf3504f3, v55
	v_fmac_f32_e32 v42, 0x3f3504f3, v50
	v_fma_f32 v41, v105, 2.0, -v44
	v_dual_add_f32 v44, v44, v106 :: v_dual_fmac_f32 v47, 0xbf3504f3, v48
	v_fmac_f32_e32 v46, 0x3f3504f3, v110
	s_delay_alu instid0(VALU_DEP_3) | instskip(SKIP_1) | instid1(VALU_DEP_4)
	v_dual_sub_f32 v40, v52, v40 :: v_dual_sub_f32 v41, v53, v41
	v_fmac_f32_e32 v43, 0xbf3504f3, v49
	v_fma_f32 v48, v106, 2.0, -v44
	v_fma_f32 v49, v107, 2.0, -v45
	;; [unrolled: 1-line block ×5, first 2 shown]
	global_wb scope:SCOPE_SE
	s_barrier_signal -1
	s_barrier_wait -1
	global_inv scope:SCOPE_SE
	ds_store_b128 v103, v[60:63]
	ds_store_b128 v103, v[93:96] offset:16
	ds_store_b128 v103, v[56:59] offset:32
	;; [unrolled: 1-line block ×3, first 2 shown]
	s_and_saveexec_b32 s0, vcc_lo
	s_cbranch_execz .LBB0_17
; %bb.16:
	v_fma_f32 v55, v55, 2.0, -v43
	v_fma_f32 v54, v54, 2.0, -v42
	;; [unrolled: 1-line block ×4, first 2 shown]
	v_add_lshl_u32 v56, v100, v104, 3
	ds_store_b128 v56, v[52:55]
	ds_store_b128 v56, v[48:51] offset:16
	ds_store_b128 v56, v[40:43] offset:32
	;; [unrolled: 1-line block ×3, first 2 shown]
.LBB0_17:
	s_wait_alu 0xfffe
	s_or_b32 exec_lo, exec_lo, s0
	global_wb scope:SCOPE_SE
	s_wait_dscnt 0x0
	s_barrier_signal -1
	s_barrier_wait -1
	global_inv scope:SCOPE_SE
	ds_load_2addr_stride64_b64 v[52:55], v97 offset0:1 offset1:2
	ds_load_2addr_stride64_b64 v[56:59], v97 offset0:3 offset1:4
	;; [unrolled: 1-line block ×3, first 2 shown]
	ds_load_b64 v[93:94], v99
	ds_load_2addr_stride64_b64 v[64:67], v97 offset0:7 offset1:8
	ds_load_b64 v[95:96], v97 offset:4608
	global_wb scope:SCOPE_SE
	s_wait_dscnt 0x0
	s_barrier_signal -1
	s_barrier_wait -1
	global_inv scope:SCOPE_SE
	v_dual_mul_f32 v100, v25, v53 :: v_dual_mul_f32 v101, v27, v55
	v_dual_mul_f32 v25, v25, v52 :: v_dual_mul_f32 v104, v23, v59
	s_delay_alu instid0(VALU_DEP_2)
	v_dual_mul_f32 v27, v27, v54 :: v_dual_fmac_f32 v100, v24, v52
	v_mul_f32_e32 v103, v21, v57
	v_mul_f32_e32 v21, v21, v56
	;; [unrolled: 1-line block ×3, first 2 shown]
	v_fma_f32 v24, v24, v53, -v25
	v_fmac_f32_e32 v101, v26, v54
	v_fma_f32 v25, v26, v55, -v27
	v_mul_f32_e32 v26, v88, v96
	v_dual_fmac_f32 v104, v22, v58 :: v_dual_fmac_f32 v103, v20, v56
	v_fma_f32 v20, v20, v57, -v21
	v_fma_f32 v21, v22, v59, -v23
	v_mul_f32_e32 v22, v19, v63
	v_fmac_f32_e32 v26, v87, v95
	v_dual_mul_f32 v19, v19, v62 :: v_dual_sub_f32 v52, v101, v104
	s_delay_alu instid0(VALU_DEP_3) | instskip(SKIP_1) | instid1(VALU_DEP_3)
	v_dual_mul_f32 v105, v17, v61 :: v_dual_fmac_f32 v22, v18, v62
	v_dual_mul_f32 v23, v1, v65 :: v_dual_mul_f32 v56, v88, v95
	v_fma_f32 v18, v18, v63, -v19
	v_mul_f32_e32 v1, v1, v64
	v_add_f32_e32 v27, v93, v101
	s_delay_alu instid0(VALU_DEP_4) | instskip(SKIP_1) | instid1(VALU_DEP_4)
	v_fmac_f32_e32 v23, v0, v64
	v_sub_f32_e32 v57, v104, v101
	v_fma_f32 v0, v0, v65, -v1
	s_delay_alu instid0(VALU_DEP_4) | instskip(SKIP_3) | instid1(VALU_DEP_4)
	v_add_f32_e32 v1, v27, v104
	v_sub_f32_e32 v27, v21, v18
	v_add_f32_e32 v19, v104, v22
	v_fmac_f32_e32 v105, v16, v60
	v_add_f32_e32 v1, v1, v22
	s_delay_alu instid0(VALU_DEP_3) | instskip(SKIP_2) | instid1(VALU_DEP_2)
	v_fma_f32 v53, -0.5, v19, v93
	v_mul_f32_e32 v17, v17, v60
	v_add_f32_e32 v60, v21, v18
	v_fma_f32 v16, v16, v61, -v17
	v_mul_f32_e32 v17, v3, v66
	v_mul_f32_e32 v3, v3, v67
	s_delay_alu instid0(VALU_DEP_2) | instskip(NEXT) | instid1(VALU_DEP_2)
	v_fma_f32 v17, v2, v67, -v17
	v_fmac_f32_e32 v3, v2, v66
	s_delay_alu instid0(VALU_DEP_1) | instskip(SKIP_2) | instid1(VALU_DEP_3)
	v_dual_sub_f32 v19, v25, v17 :: v_dual_sub_f32 v54, v3, v22
	v_sub_f32_e32 v58, v22, v3
	v_dual_sub_f32 v22, v104, v22 :: v_dual_add_f32 v55, v101, v3
	v_fmamk_f32 v2, v19, 0xbf737871, v53
	v_fmac_f32_e32 v53, 0x3f737871, v19
	v_dual_add_f32 v59, v94, v25 :: v_dual_add_f32 v52, v52, v54
	s_delay_alu instid0(VALU_DEP_4) | instskip(NEXT) | instid1(VALU_DEP_4)
	v_fma_f32 v55, -0.5, v55, v93
	v_fmac_f32_e32 v2, 0xbf167918, v27
	v_fma_f32 v54, v87, v96, -v56
	v_add_f32_e32 v57, v57, v58
	v_fma_f32 v58, -0.5, v60, v94
	v_fmamk_f32 v56, v27, 0x3f737871, v55
	v_dual_fmac_f32 v55, 0xbf737871, v27 :: v_dual_sub_f32 v60, v17, v18
	v_fmac_f32_e32 v53, 0x3f167918, v27
	s_delay_alu instid0(VALU_DEP_3) | instskip(NEXT) | instid1(VALU_DEP_3)
	v_dual_add_f32 v27, v59, v21 :: v_dual_fmac_f32 v56, 0xbf167918, v19
	v_fmac_f32_e32 v55, 0x3f167918, v19
	v_dual_fmac_f32 v2, 0x3e9e377a, v52 :: v_dual_sub_f32 v61, v23, v26
	s_delay_alu instid0(VALU_DEP_3) | instskip(SKIP_3) | instid1(VALU_DEP_3)
	v_add_f32_e32 v19, v27, v18
	v_add_f32_e32 v27, v25, v17
	v_fmac_f32_e32 v56, 0x3e9e377a, v57
	v_dual_fmac_f32 v55, 0x3e9e377a, v57 :: v_dual_sub_f32 v62, v0, v54
	v_dual_fmac_f32 v94, -0.5, v27 :: v_dual_add_f32 v27, v19, v17
	v_dual_sub_f32 v17, v18, v17 :: v_dual_add_f32 v18, v100, v103
	v_add_f32_e32 v1, v1, v3
	s_delay_alu instid0(VALU_DEP_3) | instskip(SKIP_1) | instid1(VALU_DEP_4)
	v_fmamk_f32 v57, v22, 0xbf737871, v94
	v_fmac_f32_e32 v94, 0x3f737871, v22
	v_dual_add_f32 v18, v18, v105 :: v_dual_fmac_f32 v53, 0x3e9e377a, v52
	v_sub_f32_e32 v52, v25, v21
	v_sub_f32_e32 v21, v21, v25
	s_delay_alu instid0(VALU_DEP_2) | instskip(NEXT) | instid1(VALU_DEP_2)
	v_add_f32_e32 v19, v52, v60
	v_add_f32_e32 v17, v21, v17
	v_sub_f32_e32 v3, v101, v3
	v_add_f32_e32 v21, v105, v23
	v_sub_f32_e32 v60, v105, v103
	s_delay_alu instid0(VALU_DEP_3) | instskip(NEXT) | instid1(VALU_DEP_1)
	v_fmac_f32_e32 v94, 0xbf167918, v3
	v_fmac_f32_e32 v94, 0x3e9e377a, v17
	v_fmamk_f32 v59, v3, 0x3f737871, v58
	v_fmac_f32_e32 v58, 0xbf737871, v3
	s_delay_alu instid0(VALU_DEP_2) | instskip(NEXT) | instid1(VALU_DEP_2)
	v_fmac_f32_e32 v59, 0x3f167918, v22
	v_fmac_f32_e32 v58, 0xbf167918, v22
	v_sub_f32_e32 v22, v26, v23
	s_delay_alu instid0(VALU_DEP_3) | instskip(NEXT) | instid1(VALU_DEP_3)
	v_fmac_f32_e32 v59, 0x3e9e377a, v19
	v_fmac_f32_e32 v58, 0x3e9e377a, v19
	v_fma_f32 v19, -0.5, v21, v100
	v_sub_f32_e32 v21, v20, v54
	v_fmac_f32_e32 v57, 0x3f167918, v3
	v_dual_add_f32 v3, v18, v23 :: v_dual_add_f32 v18, v103, v26
	v_sub_f32_e32 v23, v105, v23
	s_delay_alu instid0(VALU_DEP_4) | instskip(NEXT) | instid1(VALU_DEP_4)
	v_fmamk_f32 v25, v21, 0xbf737871, v19
	v_fmac_f32_e32 v57, 0x3e9e377a, v17
	s_delay_alu instid0(VALU_DEP_4) | instskip(SKIP_2) | instid1(VALU_DEP_3)
	v_dual_sub_f32 v17, v16, v0 :: v_dual_fmac_f32 v100, -0.5, v18
	v_fmac_f32_e32 v19, 0x3f737871, v21
	v_sub_f32_e32 v18, v103, v105
	v_fmac_f32_e32 v25, 0xbf167918, v17
	s_delay_alu instid0(VALU_DEP_4) | instskip(NEXT) | instid1(VALU_DEP_4)
	v_fmamk_f32 v52, v17, 0x3f737871, v100
	v_fmac_f32_e32 v19, 0x3f167918, v17
	v_dual_fmac_f32 v100, 0xbf737871, v17 :: v_dual_add_f32 v17, v16, v0
	v_add_f32_e32 v18, v18, v22
	s_delay_alu instid0(VALU_DEP_4) | instskip(SKIP_1) | instid1(VALU_DEP_4)
	v_fmac_f32_e32 v52, 0xbf167918, v21
	v_add_f32_e32 v22, v60, v61
	v_fmac_f32_e32 v100, 0x3f167918, v21
	v_fma_f32 v17, -0.5, v17, v24
	v_sub_f32_e32 v21, v103, v26
	v_fmac_f32_e32 v25, 0x3e9e377a, v18
	v_fmac_f32_e32 v52, 0x3e9e377a, v22
	v_fmac_f32_e32 v100, 0x3e9e377a, v22
	v_sub_f32_e32 v22, v54, v0
	v_dual_fmamk_f32 v60, v21, 0x3f737871, v17 :: v_dual_add_f32 v3, v3, v26
	v_add_f32_e32 v26, v24, v20
	s_delay_alu instid0(VALU_DEP_2) | instskip(SKIP_2) | instid1(VALU_DEP_1)
	v_fmac_f32_e32 v60, 0x3f167918, v23
	v_fmac_f32_e32 v19, 0x3e9e377a, v18
	v_add_f32_e32 v18, v20, v54
	v_fmac_f32_e32 v24, -0.5, v18
	v_sub_f32_e32 v18, v20, v16
	v_sub_f32_e32 v20, v16, v20
	v_add_f32_e32 v16, v26, v16
	s_delay_alu instid0(VALU_DEP_4) | instskip(NEXT) | instid1(VALU_DEP_4)
	v_dual_sub_f32 v26, v1, v3 :: v_dual_fmamk_f32 v61, v23, 0xbf737871, v24
	v_add_f32_e32 v18, v18, v22
	v_fmac_f32_e32 v24, 0x3f737871, v23
	v_add_f32_e32 v20, v20, v62
	v_add_f32_e32 v0, v16, v0
	;; [unrolled: 1-line block ×3, first 2 shown]
	v_fmac_f32_e32 v60, 0x3e9e377a, v18
	s_delay_alu instid0(VALU_DEP_1) | instskip(SKIP_2) | instid1(VALU_DEP_2)
	v_mul_f32_e32 v62, 0xbf167918, v60
	v_fmac_f32_e32 v24, 0xbf167918, v21
	v_mul_f32_e32 v60, 0x3f4f1bbd, v60
	v_dual_fmac_f32 v24, 0x3e9e377a, v20 :: v_dual_add_f32 v65, v0, v54
	s_delay_alu instid0(VALU_DEP_4) | instskip(NEXT) | instid1(VALU_DEP_3)
	v_fmac_f32_e32 v62, 0x3f4f1bbd, v25
	v_fmac_f32_e32 v60, 0x3f167918, v25
	s_delay_alu instid0(VALU_DEP_3) | instskip(SKIP_1) | instid1(VALU_DEP_2)
	v_mul_f32_e32 v64, 0xbf737871, v24
	v_mul_f32_e32 v67, 0xbe9e377a, v24
	v_fmac_f32_e32 v64, 0xbe9e377a, v100
	v_fmac_f32_e32 v17, 0xbf737871, v21
	s_delay_alu instid0(VALU_DEP_3) | instskip(NEXT) | instid1(VALU_DEP_2)
	v_fmac_f32_e32 v67, 0x3f737871, v100
	v_dual_add_f32 v22, v55, v64 :: v_dual_fmac_f32 v17, 0xbf167918, v23
	s_delay_alu instid0(VALU_DEP_2) | instskip(SKIP_1) | instid1(VALU_DEP_3)
	v_add_f32_e32 v23, v94, v67
	v_sub_f32_e32 v1, v94, v67
	v_fmac_f32_e32 v17, 0x3e9e377a, v18
	v_dual_add_f32 v18, v2, v62 :: v_dual_fmac_f32 v61, 0x3f167918, v21
	s_delay_alu instid0(VALU_DEP_2) | instskip(NEXT) | instid1(VALU_DEP_1)
	v_mul_f32_e32 v66, 0xbf167918, v17
	v_fmac_f32_e32 v66, 0xbf4f1bbd, v19
	s_delay_alu instid0(VALU_DEP_1) | instskip(NEXT) | instid1(VALU_DEP_1)
	v_dual_fmac_f32 v61, 0x3e9e377a, v20 :: v_dual_add_f32 v24, v53, v66
	v_mul_f32_e32 v63, 0xbf737871, v61
	v_mul_f32_e32 v61, 0x3e9e377a, v61
	s_delay_alu instid0(VALU_DEP_2) | instskip(NEXT) | instid1(VALU_DEP_2)
	v_fmac_f32_e32 v63, 0x3e9e377a, v52
	v_dual_fmac_f32 v61, 0x3f737871, v52 :: v_dual_sub_f32 v52, v2, v62
	v_sub_f32_e32 v2, v53, v66
	s_delay_alu instid0(VALU_DEP_3) | instskip(SKIP_1) | instid1(VALU_DEP_4)
	v_dual_sub_f32 v54, v56, v63 :: v_dual_mul_f32 v87, 0xbf4f1bbd, v17
	v_dual_add_f32 v17, v27, v65 :: v_dual_add_f32 v20, v56, v63
	v_dual_add_f32 v21, v57, v61 :: v_dual_sub_f32 v0, v55, v64
	s_delay_alu instid0(VALU_DEP_3)
	v_fmac_f32_e32 v87, 0x3f167918, v19
	v_add_f32_e32 v19, v59, v60
	v_sub_f32_e32 v55, v57, v61
	v_add_nc_u32_e32 v57, 0x400, v97
	v_sub_f32_e32 v27, v27, v65
	v_dual_add_f32 v25, v58, v87 :: v_dual_add_nc_u32 v56, 0x800, v97
	v_sub_f32_e32 v53, v59, v60
	v_sub_f32_e32 v3, v58, v87
	ds_store_2addr_b64 v102, v[16:17], v[18:19] offset1:8
	ds_store_2addr_b64 v102, v[20:21], v[22:23] offset0:16 offset1:24
	ds_store_2addr_b64 v102, v[24:25], v[26:27] offset0:32 offset1:40
	;; [unrolled: 1-line block ×4, first 2 shown]
	global_wb scope:SCOPE_SE
	s_wait_dscnt 0x0
	s_barrier_signal -1
	s_barrier_wait -1
	global_inv scope:SCOPE_SE
	ds_load_2addr_b64 v[24:27], v97 offset0:80 offset1:160
	ds_load_2addr_b64 v[20:23], v57 offset0:112 offset1:192
	;; [unrolled: 1-line block ×3, first 2 shown]
	ds_load_b64 v[52:53], v99
	ds_load_b64 v[54:55], v97 offset:4480
	s_and_saveexec_b32 s0, vcc_lo
	s_cbranch_execz .LBB0_19
; %bb.18:
	v_add_nc_u32_e32 v44, 0x1000, v97
	ds_load_2addr_b64 v[0:3], v97 offset0:64 offset1:144
	ds_load_2addr_b64 v[48:51], v57 offset0:96 offset1:176
	;; [unrolled: 1-line block ×4, first 2 shown]
.LBB0_19:
	s_wait_alu 0xfffe
	s_or_b32 exec_lo, exec_lo, s0
	s_wait_dscnt 0x4
	v_dual_mul_f32 v58, v37, v25 :: v_dual_mul_f32 v59, v39, v27
	v_mul_f32_e32 v37, v37, v24
	s_wait_dscnt 0x3
	v_dual_mul_f32 v39, v39, v26 :: v_dual_mul_f32 v60, v33, v21
	s_delay_alu instid0(VALU_DEP_3) | instskip(SKIP_2) | instid1(VALU_DEP_3)
	v_dual_fmac_f32 v58, v36, v24 :: v_dual_fmac_f32 v59, v38, v26
	v_mul_f32_e32 v26, v33, v20
	s_wait_dscnt 0x2
	v_dual_mul_f32 v33, v29, v17 :: v_dual_fmac_f32 v60, v32, v20
	v_mul_f32_e32 v20, v35, v23
	v_fma_f32 v24, v36, v25, -v37
	v_fma_f32 v25, v38, v27, -v39
	v_mul_f32_e32 v27, v35, v22
	v_fma_f32 v21, v32, v21, -v26
	v_mul_f32_e32 v26, v29, v16
	v_dual_fmac_f32 v20, v34, v22 :: v_dual_fmac_f32 v33, v28, v16
	s_delay_alu instid0(VALU_DEP_4)
	v_fma_f32 v22, v34, v23, -v27
	v_mul_f32_e32 v23, v31, v18
	s_wait_dscnt 0x0
	v_dual_mul_f32 v16, v31, v19 :: v_dual_mul_f32 v27, v92, v54
	v_fma_f32 v17, v28, v17, -v26
	v_mul_f32_e32 v26, v92, v55
	v_fma_f32 v19, v30, v19, -v23
	s_delay_alu instid0(VALU_DEP_3) | instskip(NEXT) | instid1(VALU_DEP_1)
	v_dual_fmac_f32 v16, v30, v18 :: v_dual_sub_f32 v17, v24, v17
	v_dual_sub_f32 v19, v25, v19 :: v_dual_sub_f32 v16, v59, v16
	s_delay_alu instid0(VALU_DEP_2) | instskip(NEXT) | instid1(VALU_DEP_2)
	v_fma_f32 v24, v24, 2.0, -v17
	v_fma_f32 v25, v25, 2.0, -v19
	v_sub_f32_e32 v22, v53, v22
	s_delay_alu instid0(VALU_DEP_4) | instskip(SKIP_4) | instid1(VALU_DEP_4)
	v_fma_f32 v29, v59, 2.0, -v16
	v_sub_f32_e32 v18, v52, v20
	v_fma_f32 v20, v91, v55, -v27
	v_dual_sub_f32 v27, v58, v33 :: v_dual_fmac_f32 v26, v91, v54
	v_fma_f32 v28, v53, 2.0, -v22
	v_fma_f32 v23, v52, 2.0, -v18
	s_delay_alu instid0(VALU_DEP_4) | instskip(NEXT) | instid1(VALU_DEP_4)
	v_sub_f32_e32 v20, v21, v20
	v_fma_f32 v30, v58, 2.0, -v27
	s_delay_alu instid0(VALU_DEP_4) | instskip(NEXT) | instid1(VALU_DEP_4)
	v_sub_f32_e32 v31, v28, v25
	v_dual_sub_f32 v26, v60, v26 :: v_dual_sub_f32 v29, v23, v29
	s_delay_alu instid0(VALU_DEP_1) | instskip(NEXT) | instid1(VALU_DEP_1)
	v_fma_f32 v25, v60, 2.0, -v26
	v_sub_f32_e32 v25, v30, v25
	v_sub_f32_e32 v33, v22, v16
	s_delay_alu instid0(VALU_DEP_2) | instskip(NEXT) | instid1(VALU_DEP_2)
	v_fma_f32 v16, v30, 2.0, -v25
	v_fma_f32 v37, v22, 2.0, -v33
	v_add_f32_e32 v32, v18, v19
	v_fma_f32 v19, v21, 2.0, -v20
	v_fma_f32 v21, v23, 2.0, -v29
	;; [unrolled: 1-line block ×3, first 2 shown]
	s_delay_alu instid0(VALU_DEP_3) | instskip(NEXT) | instid1(VALU_DEP_1)
	v_sub_f32_e32 v35, v24, v19
	v_fma_f32 v19, v24, 2.0, -v35
	v_sub_f32_e32 v36, v17, v26
	v_sub_f32_e32 v16, v21, v16
	s_delay_alu instid0(VALU_DEP_2) | instskip(NEXT) | instid1(VALU_DEP_4)
	v_fma_f32 v24, v17, 2.0, -v36
	v_sub_f32_e32 v17, v23, v19
	s_delay_alu instid0(VALU_DEP_2) | instskip(SKIP_2) | instid1(VALU_DEP_4)
	v_dual_fmamk_f32 v19, v24, 0xbf3504f3, v37 :: v_dual_add_f32 v34, v27, v20
	v_fma_f32 v28, v18, 2.0, -v32
	v_fma_f32 v20, v21, 2.0, -v16
	;; [unrolled: 1-line block ×3, first 2 shown]
	v_fmamk_f32 v23, v36, 0x3f3504f3, v33
	v_fma_f32 v22, v27, 2.0, -v34
	v_sub_f32_e32 v27, v31, v25
	s_delay_alu instid0(VALU_DEP_2) | instskip(SKIP_2) | instid1(VALU_DEP_3)
	v_dual_fmac_f32 v19, 0xbf3504f3, v22 :: v_dual_fmamk_f32 v18, v22, 0xbf3504f3, v28
	v_fmamk_f32 v22, v34, 0x3f3504f3, v32
	v_dual_add_f32 v26, v29, v35 :: v_dual_fmac_f32 v23, 0xbf3504f3, v34
	v_fma_f32 v25, v37, 2.0, -v19
	s_delay_alu instid0(VALU_DEP_4) | instskip(NEXT) | instid1(VALU_DEP_4)
	v_fmac_f32_e32 v18, 0x3f3504f3, v24
	v_fmac_f32_e32 v22, 0x3f3504f3, v36
	s_delay_alu instid0(VALU_DEP_2) | instskip(SKIP_2) | instid1(VALU_DEP_4)
	v_fma_f32 v24, v28, 2.0, -v18
	v_fma_f32 v28, v29, 2.0, -v26
	;; [unrolled: 1-line block ×5, first 2 shown]
	ds_store_b64 v99, v[20:21]
	ds_store_2addr_b64 v97, v[24:25], v[28:29] offset0:80 offset1:160
	ds_store_2addr_b64 v57, v[30:31], v[16:17] offset0:112 offset1:192
	;; [unrolled: 1-line block ×3, first 2 shown]
	ds_store_b64 v97, v[22:23] offset:4480
	s_and_saveexec_b32 s0, vcc_lo
	s_cbranch_execz .LBB0_21
; %bb.20:
	v_dual_mul_f32 v16, v7, v40 :: v_dual_mul_f32 v19, v9, v2
	v_mul_f32_e32 v18, v15, v45
	v_dual_mul_f32 v17, v11, v49 :: v_dual_mul_f32 v20, v13, v42
	v_mul_f32_e32 v22, v90, v47
	s_delay_alu instid0(VALU_DEP_4)
	v_fma_f32 v19, v8, v3, -v19
	v_mul_f32_e32 v21, v5, v51
	v_mul_f32_e32 v5, v5, v50
	v_fma_f32 v16, v6, v41, -v16
	v_fmac_f32_e32 v18, v14, v44
	v_fmac_f32_e32 v17, v10, v48
	v_mul_f32_e32 v23, v90, v46
	v_fma_f32 v24, v4, v51, -v5
	v_mul_f32_e32 v5, v9, v3
	v_mul_f32_e32 v9, v11, v48
	v_fma_f32 v20, v12, v43, -v20
	v_sub_f32_e32 v16, v1, v16
	v_dual_sub_f32 v18, v17, v18 :: v_dual_mul_f32 v11, v15, v44
	v_dual_fmac_f32 v22, v89, v46 :: v_dual_mul_f32 v7, v7, v41
	s_delay_alu instid0(VALU_DEP_4)
	v_dual_sub_f32 v20, v19, v20 :: v_dual_mul_f32 v3, v13, v43
	v_fmac_f32_e32 v5, v8, v2
	v_fma_f32 v8, v10, v49, -v9
	v_fma_f32 v2, v14, v45, -v11
	v_fma_f32 v15, v1, 2.0, -v16
	v_fmac_f32_e32 v3, v12, v42
	v_fmac_f32_e32 v21, v4, v50
	v_fma_f32 v4, v89, v47, -v23
	s_delay_alu instid0(VALU_DEP_3) | instskip(NEXT) | instid1(VALU_DEP_3)
	v_dual_sub_f32 v11, v16, v18 :: v_dual_sub_f32 v10, v5, v3
	v_dual_fmac_f32 v7, v6, v40 :: v_dual_sub_f32 v6, v21, v22
	s_delay_alu instid0(VALU_DEP_3) | instskip(SKIP_1) | instid1(VALU_DEP_4)
	v_sub_f32_e32 v9, v24, v4
	v_sub_f32_e32 v4, v8, v2
	v_fma_f32 v16, v16, 2.0, -v11
	s_delay_alu instid0(VALU_DEP_4) | instskip(SKIP_1) | instid1(VALU_DEP_4)
	v_sub_f32_e32 v7, v0, v7
	v_sub_f32_e32 v12, v20, v6
	v_fma_f32 v1, v8, 2.0, -v4
	v_fma_f32 v8, v17, 2.0, -v18
	s_delay_alu instid0(VALU_DEP_4) | instskip(NEXT) | instid1(VALU_DEP_4)
	v_fma_f32 v0, v0, 2.0, -v7
	v_fmamk_f32 v3, v12, 0x3f3504f3, v11
	v_add_f32_e32 v14, v4, v7
	v_fma_f32 v4, v21, 2.0, -v6
	v_dual_sub_f32 v6, v15, v1 :: v_dual_add_f32 v13, v9, v10
	v_fma_f32 v17, v19, 2.0, -v20
	v_fma_f32 v9, v24, 2.0, -v9
	s_delay_alu instid0(VALU_DEP_3) | instskip(NEXT) | instid1(VALU_DEP_4)
	v_fma_f32 v15, v15, 2.0, -v6
	v_fmac_f32_e32 v3, 0xbf3504f3, v13
	v_fmamk_f32 v2, v13, 0x3f3504f3, v14
	v_fma_f32 v22, v5, 2.0, -v10
	s_delay_alu instid0(VALU_DEP_3) | instskip(NEXT) | instid1(VALU_DEP_3)
	v_fma_f32 v5, v11, 2.0, -v3
	v_fmac_f32_e32 v2, 0x3f3504f3, v12
	s_delay_alu instid0(VALU_DEP_3) | instskip(SKIP_2) | instid1(VALU_DEP_4)
	v_sub_f32_e32 v21, v22, v4
	v_fma_f32 v11, v20, 2.0, -v12
	v_fma_f32 v12, v7, 2.0, -v14
	;; [unrolled: 1-line block ×3, first 2 shown]
	s_delay_alu instid0(VALU_DEP_4) | instskip(SKIP_3) | instid1(VALU_DEP_4)
	v_dual_sub_f32 v1, v6, v21 :: v_dual_sub_f32 v14, v0, v8
	v_fma_f32 v10, v10, 2.0, -v13
	v_sub_f32_e32 v13, v17, v9
	v_fmamk_f32 v9, v11, 0xbf3504f3, v16
	v_fma_f32 v7, v6, 2.0, -v1
	v_fma_f32 v18, v22, 2.0, -v21
	v_fmamk_f32 v8, v10, 0xbf3504f3, v12
	v_fma_f32 v6, v17, 2.0, -v13
	v_fma_f32 v17, v0, 2.0, -v14
	v_dual_add_f32 v0, v14, v13 :: v_dual_fmac_f32 v9, 0xbf3504f3, v10
	s_delay_alu instid0(VALU_DEP_3) | instskip(NEXT) | instid1(VALU_DEP_3)
	v_dual_fmac_f32 v8, 0x3f3504f3, v11 :: v_dual_sub_f32 v11, v15, v6
	v_sub_f32_e32 v10, v17, v18
	s_delay_alu instid0(VALU_DEP_3) | instskip(NEXT) | instid1(VALU_DEP_4)
	v_fma_f32 v6, v14, 2.0, -v0
	v_fma_f32 v13, v16, 2.0, -v9
	v_add_nc_u32_e32 v16, 0x400, v97
	v_fma_f32 v12, v12, 2.0, -v8
	v_fma_f32 v15, v15, 2.0, -v11
	v_fma_f32 v14, v17, 2.0, -v10
	v_add_nc_u32_e32 v17, 0x800, v97
	v_add_nc_u32_e32 v18, 0x1000, v97
	ds_store_2addr_b64 v97, v[14:15], v[12:13] offset0:64 offset1:144
	ds_store_2addr_b64 v16, v[6:7], v[4:5] offset0:96 offset1:176
	;; [unrolled: 1-line block ×4, first 2 shown]
.LBB0_21:
	s_wait_alu 0xfffe
	s_or_b32 exec_lo, exec_lo, s0
	global_wb scope:SCOPE_SE
	s_wait_dscnt 0x0
	s_barrier_signal -1
	s_barrier_wait -1
	global_inv scope:SCOPE_SE
	ds_load_b64 v[0:1], v99
	ds_load_2addr_b64 v[4:7], v97 offset0:80 offset1:160
	v_add_nc_u32_e32 v3, 0x400, v97
	v_add_nc_u32_e32 v2, 0x800, v97
	v_mad_co_u64_u32 v[16:17], null, s6, v70, 0
	s_mov_b32 s2, 0x9999999a
	s_mov_b32 s3, 0x3f599999
	v_mad_co_u64_u32 v[36:37], null, s4, v98, 0
	s_wait_dscnt 0x1
	v_mul_f32_e32 v21, v72, v0
	s_wait_dscnt 0x0
	v_mul_f32_e32 v24, v76, v7
	ds_load_b64 v[18:19], v97 offset:4480
	ds_load_2addr_b64 v[8:11], v3 offset0:112 offset1:192
	ds_load_2addr_b64 v[12:15], v2 offset0:144 offset1:224
	v_dual_mul_f32 v22, v74, v5 :: v_dual_mul_f32 v25, v76, v6
	v_dual_mul_f32 v20, v72, v1 :: v_dual_mul_f32 v23, v74, v4
	v_fmac_f32_e32 v24, v75, v6
	s_delay_alu instid0(VALU_DEP_3) | instskip(SKIP_1) | instid1(VALU_DEP_4)
	v_fmac_f32_e32 v22, v73, v4
	v_fma_f32 v21, v71, v1, -v21
	v_fmac_f32_e32 v20, v71, v0
	v_fma_f32 v23, v73, v5, -v23
	v_fma_f32 v25, v75, v7, -v25
	s_delay_alu instid0(VALU_DEP_4)
	v_cvt_f64_f32_e32 v[4:5], v21
	s_wait_dscnt 0x2
	v_mul_f32_e32 v34, v86, v19
	s_wait_dscnt 0x1
	v_mul_f32_e32 v29, v82, v10
	;; [unrolled: 2-line block ×3, first 2 shown]
	v_dual_mul_f32 v30, v80, v13 :: v_dual_mul_f32 v35, v86, v18
	v_fmac_f32_e32 v34, v85, v18
	v_mul_f32_e32 v26, v78, v9
	s_delay_alu instid0(VALU_DEP_4)
	v_fma_f32 v33, v83, v15, -v33
	v_mul_f32_e32 v27, v78, v8
	v_fma_f32 v35, v85, v19, -v35
	v_mul_f32_e32 v28, v82, v11
	v_fmac_f32_e32 v30, v79, v12
	v_cvt_f64_f32_e32 v[18:19], v33
	v_mul_f32_e32 v12, v80, v12
	v_mul_f32_e32 v32, v84, v15
	v_fma_f32 v27, v77, v9, -v27
	v_fmac_f32_e32 v28, v81, v10
	v_fma_f32 v29, v81, v11, -v29
	v_cvt_f64_f32_e32 v[0:1], v20
	v_fma_f32 v12, v79, v13, -v12
	v_cvt_f64_f32_e32 v[6:7], v22
	v_cvt_f64_f32_e32 v[20:21], v23
	v_fmac_f32_e32 v32, v83, v14
	v_cvt_f64_f32_e32 v[22:23], v24
	v_cvt_f64_f32_e32 v[24:25], v25
	;; [unrolled: 1-line block ×8, first 2 shown]
	s_wait_alu 0xfffe
	v_mul_f64_e32 v[4:5], s[2:3], v[4:5]
	v_mad_co_u64_u32 v[38:39], null, s7, v70, v[17:18]
	v_fmac_f32_e32 v26, v77, v8
	v_mul_f64_e32 v[18:19], s[2:3], v[18:19]
	s_mul_u64 s[6:7], s[4:5], 0x50
	v_mul_f64_e32 v[0:1], s[2:3], v[0:1]
	s_wait_alu 0xfffe
	s_lshl_b64 s[6:7], s[6:7], 3
	s_delay_alu instid0(VALU_DEP_4)
	v_mov_b32_e32 v17, v38
	v_cvt_f64_f32_e32 v[8:9], v26
	v_cvt_f64_f32_e32 v[26:27], v28
	;; [unrolled: 1-line block ×3, first 2 shown]
	v_mul_f64_e32 v[6:7], s[2:3], v[6:7]
	v_mul_f64_e32 v[20:21], s[2:3], v[20:21]
	;; [unrolled: 1-line block ×10, first 2 shown]
	v_mad_co_u64_u32 v[37:38], null, s5, v98, v[37:38]
	v_lshlrev_b64_e32 v[16:17], 3, v[16:17]
	v_cvt_f32_f64_e32 v39, v[4:5]
	s_delay_alu instid0(VALU_DEP_3) | instskip(NEXT) | instid1(VALU_DEP_3)
	v_lshlrev_b64_e32 v[36:37], 3, v[36:37]
	v_add_co_u32 v16, s0, s10, v16
	s_wait_alu 0xf1ff
	s_delay_alu instid0(VALU_DEP_4) | instskip(NEXT) | instid1(VALU_DEP_2)
	v_add_co_ci_u32_e64 v17, s0, s11, v17, s0
	v_add_co_u32 v16, s0, v16, v36
	s_wait_alu 0xf1ff
	s_delay_alu instid0(VALU_DEP_2) | instskip(SKIP_1) | instid1(VALU_DEP_2)
	v_add_co_ci_u32_e64 v17, s0, v17, v37, s0
	s_wait_alu 0xfffe
	v_add_co_u32 v36, s0, v16, s6
	s_wait_alu 0xf1ff
	s_delay_alu instid0(VALU_DEP_2)
	v_add_co_ci_u32_e64 v37, s0, s7, v17, s0
	v_cvt_f32_f64_e32 v38, v[0:1]
	v_mul_f64_e32 v[8:9], s[2:3], v[8:9]
	v_mul_f64_e32 v[26:27], s[2:3], v[26:27]
	;; [unrolled: 1-line block ×3, first 2 shown]
	v_cvt_f32_f64_e32 v4, v[6:7]
	v_cvt_f32_f64_e32 v5, v[20:21]
	;; [unrolled: 1-line block ×8, first 2 shown]
	v_add_co_u32 v18, s0, v36, s6
	v_cvt_f32_f64_e32 v14, v[32:33]
	v_cvt_f32_f64_e32 v15, v[34:35]
	s_wait_alu 0xf1ff
	v_add_co_ci_u32_e64 v19, s0, s7, v37, s0
	v_add_co_u32 v22, s0, v18, s6
	s_wait_alu 0xf1ff
	s_delay_alu instid0(VALU_DEP_2) | instskip(NEXT) | instid1(VALU_DEP_2)
	v_add_co_ci_u32_e64 v23, s0, s7, v19, s0
	v_add_co_u32 v24, s0, v22, s6
	s_wait_alu 0xf1ff
	s_delay_alu instid0(VALU_DEP_2)
	v_add_co_ci_u32_e64 v25, s0, s7, v23, s0
	v_cvt_f32_f64_e32 v8, v[8:9]
	v_cvt_f32_f64_e32 v9, v[10:11]
	;; [unrolled: 1-line block ×4, first 2 shown]
	v_add_co_u32 v26, s0, v24, s6
	s_wait_alu 0xf1ff
	v_add_co_ci_u32_e64 v27, s0, s7, v25, s0
	s_delay_alu instid0(VALU_DEP_2) | instskip(SKIP_1) | instid1(VALU_DEP_2)
	v_add_co_u32 v28, s0, v26, s6
	s_wait_alu 0xf1ff
	v_add_co_ci_u32_e64 v29, s0, s7, v27, s0
	s_delay_alu instid0(VALU_DEP_2) | instskip(SKIP_1) | instid1(VALU_DEP_2)
	v_add_co_u32 v0, s0, v28, s6
	s_wait_alu 0xf1ff
	v_add_co_ci_u32_e64 v1, s0, s7, v29, s0
	s_clause 0x4
	global_store_b64 v[16:17], v[38:39], off
	global_store_b64 v[36:37], v[4:5], off
	;; [unrolled: 1-line block ×8, first 2 shown]
	s_and_b32 exec_lo, exec_lo, vcc_lo
	s_cbranch_execz .LBB0_23
; %bb.22:
	s_clause 0x3
	global_load_b64 v[12:13], v[68:69], off offset:512
	global_load_b64 v[14:15], v[68:69], off offset:1152
	;; [unrolled: 1-line block ×4, first 2 shown]
	ds_load_2addr_b64 v[4:7], v97 offset0:64 offset1:144
	ds_load_2addr_b64 v[8:11], v3 offset0:96 offset1:176
	v_mad_co_u64_u32 v[0:1], null, 0xfffff080, s4, v[0:1]
	s_mul_i32 s0, s5, 0xfffff080
	s_wait_alu 0xfffe
	s_sub_co_i32 s0, s0, s4
	s_wait_alu 0xfffe
	s_delay_alu instid0(VALU_DEP_1)
	v_add_nc_u32_e32 v1, s0, v1
	s_wait_loadcnt_dscnt 0x201
	v_dual_mul_f32 v3, v5, v13 :: v_dual_mul_f32 v20, v7, v15
	s_wait_loadcnt_dscnt 0x0
	v_dual_mul_f32 v13, v4, v13 :: v_dual_mul_f32 v22, v11, v19
	v_mul_f32_e32 v15, v6, v15
	s_delay_alu instid0(VALU_DEP_3) | instskip(NEXT) | instid1(VALU_DEP_3)
	v_dual_mul_f32 v21, v9, v17 :: v_dual_fmac_f32 v20, v6, v14
	v_dual_mul_f32 v17, v8, v17 :: v_dual_fmac_f32 v22, v10, v18
	v_mul_f32_e32 v19, v10, v19
	v_fmac_f32_e32 v3, v4, v12
	v_fma_f32 v5, v12, v5, -v13
	v_fma_f32 v12, v14, v7, -v15
	v_fmac_f32_e32 v21, v8, v16
	v_fma_f32 v13, v16, v9, -v17
	v_fma_f32 v17, v18, v11, -v19
	v_cvt_f64_f32_e32 v[3:4], v3
	v_cvt_f64_f32_e32 v[5:6], v5
	;; [unrolled: 1-line block ×8, first 2 shown]
	v_mul_f64_e32 v[3:4], s[2:3], v[3:4]
	v_mul_f64_e32 v[5:6], s[2:3], v[5:6]
	;; [unrolled: 1-line block ×8, first 2 shown]
	v_cvt_f32_f64_e32 v3, v[3:4]
	v_cvt_f32_f64_e32 v4, v[5:6]
	;; [unrolled: 1-line block ×8, first 2 shown]
	v_add_co_u32 v11, vcc_lo, v0, s6
	s_wait_alu 0xfffd
	v_add_co_ci_u32_e32 v12, vcc_lo, s7, v1, vcc_lo
	s_delay_alu instid0(VALU_DEP_2) | instskip(SKIP_1) | instid1(VALU_DEP_2)
	v_add_co_u32 v13, vcc_lo, v11, s6
	s_wait_alu 0xfffd
	v_add_co_ci_u32_e32 v14, vcc_lo, s7, v12, vcc_lo
	s_delay_alu instid0(VALU_DEP_2) | instskip(SKIP_1) | instid1(VALU_DEP_2)
	v_add_co_u32 v15, vcc_lo, v13, s6
	s_wait_alu 0xfffd
	v_add_co_ci_u32_e32 v16, vcc_lo, s7, v14, vcc_lo
	global_store_b64 v[0:1], v[3:4], off
	global_store_b64 v[11:12], v[5:6], off
	;; [unrolled: 1-line block ×4, first 2 shown]
	global_load_b64 v[4:5], v[68:69], off offset:3072
	ds_load_2addr_b64 v[0:3], v2 offset0:128 offset1:208
	s_wait_loadcnt_dscnt 0x0
	v_mul_f32_e32 v6, v1, v5
	v_mul_f32_e32 v5, v0, v5
	s_delay_alu instid0(VALU_DEP_2) | instskip(NEXT) | instid1(VALU_DEP_2)
	v_fmac_f32_e32 v6, v0, v4
	v_fma_f32 v4, v4, v1, -v5
	s_delay_alu instid0(VALU_DEP_2) | instskip(NEXT) | instid1(VALU_DEP_2)
	v_cvt_f64_f32_e32 v[0:1], v6
	v_cvt_f64_f32_e32 v[4:5], v4
	s_delay_alu instid0(VALU_DEP_2) | instskip(NEXT) | instid1(VALU_DEP_2)
	v_mul_f64_e32 v[0:1], s[2:3], v[0:1]
	v_mul_f64_e32 v[4:5], s[2:3], v[4:5]
	s_delay_alu instid0(VALU_DEP_2) | instskip(NEXT) | instid1(VALU_DEP_2)
	v_cvt_f32_f64_e32 v0, v[0:1]
	v_cvt_f32_f64_e32 v1, v[4:5]
	v_add_co_u32 v4, vcc_lo, v15, s6
	s_wait_alu 0xfffd
	v_add_co_ci_u32_e32 v5, vcc_lo, s7, v16, vcc_lo
	global_store_b64 v[4:5], v[0:1], off
	global_load_b64 v[0:1], v[68:69], off offset:3712
	v_add_co_u32 v4, vcc_lo, v4, s6
	s_wait_alu 0xfffd
	v_add_co_ci_u32_e32 v5, vcc_lo, s7, v5, vcc_lo
	s_wait_loadcnt 0x0
	v_mul_f32_e32 v6, v3, v1
	v_mul_f32_e32 v1, v2, v1
	s_delay_alu instid0(VALU_DEP_2) | instskip(NEXT) | instid1(VALU_DEP_2)
	v_fmac_f32_e32 v6, v2, v0
	v_fma_f32 v2, v0, v3, -v1
	s_delay_alu instid0(VALU_DEP_2) | instskip(NEXT) | instid1(VALU_DEP_2)
	v_cvt_f64_f32_e32 v[0:1], v6
	v_cvt_f64_f32_e32 v[2:3], v2
	s_delay_alu instid0(VALU_DEP_2) | instskip(NEXT) | instid1(VALU_DEP_2)
	v_mul_f64_e32 v[0:1], s[2:3], v[0:1]
	v_mul_f64_e32 v[2:3], s[2:3], v[2:3]
	s_delay_alu instid0(VALU_DEP_2) | instskip(NEXT) | instid1(VALU_DEP_2)
	v_cvt_f32_f64_e32 v0, v[0:1]
	v_cvt_f32_f64_e32 v1, v[2:3]
	global_store_b64 v[4:5], v[0:1], off
	global_load_b64 v[6:7], v[68:69], off offset:4352
	v_add_nc_u32_e32 v0, 0x1000, v97
	v_add_co_u32 v4, vcc_lo, v4, s6
	s_wait_alu 0xfffd
	v_add_co_ci_u32_e32 v5, vcc_lo, s7, v5, vcc_lo
	ds_load_2addr_b64 v[0:3], v0 offset0:32 offset1:112
	s_wait_loadcnt_dscnt 0x0
	v_mul_f32_e32 v8, v1, v7
	v_mul_f32_e32 v7, v0, v7
	s_delay_alu instid0(VALU_DEP_2) | instskip(NEXT) | instid1(VALU_DEP_2)
	v_fmac_f32_e32 v8, v0, v6
	v_fma_f32 v6, v6, v1, -v7
	s_delay_alu instid0(VALU_DEP_2) | instskip(NEXT) | instid1(VALU_DEP_2)
	v_cvt_f64_f32_e32 v[0:1], v8
	v_cvt_f64_f32_e32 v[6:7], v6
	s_delay_alu instid0(VALU_DEP_2) | instskip(NEXT) | instid1(VALU_DEP_2)
	v_mul_f64_e32 v[0:1], s[2:3], v[0:1]
	v_mul_f64_e32 v[6:7], s[2:3], v[6:7]
	s_delay_alu instid0(VALU_DEP_2) | instskip(NEXT) | instid1(VALU_DEP_2)
	v_cvt_f32_f64_e32 v0, v[0:1]
	v_cvt_f32_f64_e32 v1, v[6:7]
	global_store_b64 v[4:5], v[0:1], off
	global_load_b64 v[0:1], v[68:69], off offset:4992
	s_wait_loadcnt 0x0
	v_mul_f32_e32 v6, v3, v1
	v_mul_f32_e32 v1, v2, v1
	s_delay_alu instid0(VALU_DEP_2) | instskip(NEXT) | instid1(VALU_DEP_2)
	v_fmac_f32_e32 v6, v2, v0
	v_fma_f32 v2, v0, v3, -v1
	s_delay_alu instid0(VALU_DEP_2) | instskip(NEXT) | instid1(VALU_DEP_2)
	v_cvt_f64_f32_e32 v[0:1], v6
	v_cvt_f64_f32_e32 v[2:3], v2
	s_delay_alu instid0(VALU_DEP_2) | instskip(NEXT) | instid1(VALU_DEP_2)
	v_mul_f64_e32 v[0:1], s[2:3], v[0:1]
	v_mul_f64_e32 v[2:3], s[2:3], v[2:3]
	s_delay_alu instid0(VALU_DEP_2) | instskip(NEXT) | instid1(VALU_DEP_2)
	v_cvt_f32_f64_e32 v0, v[0:1]
	v_cvt_f32_f64_e32 v1, v[2:3]
	v_add_co_u32 v2, vcc_lo, v4, s6
	s_wait_alu 0xfffd
	v_add_co_ci_u32_e32 v3, vcc_lo, s7, v5, vcc_lo
	global_store_b64 v[2:3], v[0:1], off
.LBB0_23:
	s_nop 0
	s_sendmsg sendmsg(MSG_DEALLOC_VGPRS)
	s_endpgm
	.section	.rodata,"a",@progbits
	.p2align	6, 0x0
	.amdhsa_kernel bluestein_single_fwd_len640_dim1_sp_op_CI_CI
		.amdhsa_group_segment_fixed_size 10240
		.amdhsa_private_segment_fixed_size 0
		.amdhsa_kernarg_size 104
		.amdhsa_user_sgpr_count 2
		.amdhsa_user_sgpr_dispatch_ptr 0
		.amdhsa_user_sgpr_queue_ptr 0
		.amdhsa_user_sgpr_kernarg_segment_ptr 1
		.amdhsa_user_sgpr_dispatch_id 0
		.amdhsa_user_sgpr_private_segment_size 0
		.amdhsa_wavefront_size32 1
		.amdhsa_uses_dynamic_stack 0
		.amdhsa_enable_private_segment 0
		.amdhsa_system_sgpr_workgroup_id_x 1
		.amdhsa_system_sgpr_workgroup_id_y 0
		.amdhsa_system_sgpr_workgroup_id_z 0
		.amdhsa_system_sgpr_workgroup_info 0
		.amdhsa_system_vgpr_workitem_id 0
		.amdhsa_next_free_vgpr 134
		.amdhsa_next_free_sgpr 16
		.amdhsa_reserve_vcc 1
		.amdhsa_float_round_mode_32 0
		.amdhsa_float_round_mode_16_64 0
		.amdhsa_float_denorm_mode_32 3
		.amdhsa_float_denorm_mode_16_64 3
		.amdhsa_fp16_overflow 0
		.amdhsa_workgroup_processor_mode 1
		.amdhsa_memory_ordered 1
		.amdhsa_forward_progress 0
		.amdhsa_round_robin_scheduling 0
		.amdhsa_exception_fp_ieee_invalid_op 0
		.amdhsa_exception_fp_denorm_src 0
		.amdhsa_exception_fp_ieee_div_zero 0
		.amdhsa_exception_fp_ieee_overflow 0
		.amdhsa_exception_fp_ieee_underflow 0
		.amdhsa_exception_fp_ieee_inexact 0
		.amdhsa_exception_int_div_zero 0
	.end_amdhsa_kernel
	.text
.Lfunc_end0:
	.size	bluestein_single_fwd_len640_dim1_sp_op_CI_CI, .Lfunc_end0-bluestein_single_fwd_len640_dim1_sp_op_CI_CI
                                        ; -- End function
	.section	.AMDGPU.csdata,"",@progbits
; Kernel info:
; codeLenInByte = 11424
; NumSgprs: 18
; NumVgprs: 134
; ScratchSize: 0
; MemoryBound: 0
; FloatMode: 240
; IeeeMode: 1
; LDSByteSize: 10240 bytes/workgroup (compile time only)
; SGPRBlocks: 2
; VGPRBlocks: 16
; NumSGPRsForWavesPerEU: 18
; NumVGPRsForWavesPerEU: 134
; Occupancy: 10
; WaveLimiterHint : 1
; COMPUTE_PGM_RSRC2:SCRATCH_EN: 0
; COMPUTE_PGM_RSRC2:USER_SGPR: 2
; COMPUTE_PGM_RSRC2:TRAP_HANDLER: 0
; COMPUTE_PGM_RSRC2:TGID_X_EN: 1
; COMPUTE_PGM_RSRC2:TGID_Y_EN: 0
; COMPUTE_PGM_RSRC2:TGID_Z_EN: 0
; COMPUTE_PGM_RSRC2:TIDIG_COMP_CNT: 0
	.text
	.p2alignl 7, 3214868480
	.fill 96, 4, 3214868480
	.type	__hip_cuid_d7ab7eafbab770bf,@object ; @__hip_cuid_d7ab7eafbab770bf
	.section	.bss,"aw",@nobits
	.globl	__hip_cuid_d7ab7eafbab770bf
__hip_cuid_d7ab7eafbab770bf:
	.byte	0                               ; 0x0
	.size	__hip_cuid_d7ab7eafbab770bf, 1

	.ident	"AMD clang version 19.0.0git (https://github.com/RadeonOpenCompute/llvm-project roc-6.4.0 25133 c7fe45cf4b819c5991fe208aaa96edf142730f1d)"
	.section	".note.GNU-stack","",@progbits
	.addrsig
	.addrsig_sym __hip_cuid_d7ab7eafbab770bf
	.amdgpu_metadata
---
amdhsa.kernels:
  - .args:
      - .actual_access:  read_only
        .address_space:  global
        .offset:         0
        .size:           8
        .value_kind:     global_buffer
      - .actual_access:  read_only
        .address_space:  global
        .offset:         8
        .size:           8
        .value_kind:     global_buffer
      - .actual_access:  read_only
        .address_space:  global
        .offset:         16
        .size:           8
        .value_kind:     global_buffer
      - .actual_access:  read_only
        .address_space:  global
        .offset:         24
        .size:           8
        .value_kind:     global_buffer
      - .actual_access:  read_only
        .address_space:  global
        .offset:         32
        .size:           8
        .value_kind:     global_buffer
      - .offset:         40
        .size:           8
        .value_kind:     by_value
      - .address_space:  global
        .offset:         48
        .size:           8
        .value_kind:     global_buffer
      - .address_space:  global
        .offset:         56
        .size:           8
        .value_kind:     global_buffer
      - .address_space:  global
        .offset:         64
        .size:           8
        .value_kind:     global_buffer
      - .address_space:  global
        .offset:         72
        .size:           8
        .value_kind:     global_buffer
      - .offset:         80
        .size:           4
        .value_kind:     by_value
      - .address_space:  global
        .offset:         88
        .size:           8
        .value_kind:     global_buffer
      - .address_space:  global
        .offset:         96
        .size:           8
        .value_kind:     global_buffer
    .group_segment_fixed_size: 10240
    .kernarg_segment_align: 8
    .kernarg_segment_size: 104
    .language:       OpenCL C
    .language_version:
      - 2
      - 0
    .max_flat_workgroup_size: 128
    .name:           bluestein_single_fwd_len640_dim1_sp_op_CI_CI
    .private_segment_fixed_size: 0
    .sgpr_count:     18
    .sgpr_spill_count: 0
    .symbol:         bluestein_single_fwd_len640_dim1_sp_op_CI_CI.kd
    .uniform_work_group_size: 1
    .uses_dynamic_stack: false
    .vgpr_count:     134
    .vgpr_spill_count: 0
    .wavefront_size: 32
    .workgroup_processor_mode: 1
amdhsa.target:   amdgcn-amd-amdhsa--gfx1201
amdhsa.version:
  - 1
  - 2
...

	.end_amdgpu_metadata
